;; amdgpu-corpus repo=ROCm/rocSPARSE kind=compiled arch=gfx1030 opt=O3
	.amdgcn_target "amdgcn-amd-amdhsa--gfx1030"
	.amdhsa_code_object_version 6
	.section	.text._ZN9rocsparseL24sddmm_coox_sample_kernelILi512ELb0EDF16_iiDF16_EEvT3_S1_T2_PKT4_S1_PS3_PKS2_S8_21rocsparse_index_base_,"axG",@progbits,_ZN9rocsparseL24sddmm_coox_sample_kernelILi512ELb0EDF16_iiDF16_EEvT3_S1_T2_PKT4_S1_PS3_PKS2_S8_21rocsparse_index_base_,comdat
	.globl	_ZN9rocsparseL24sddmm_coox_sample_kernelILi512ELb0EDF16_iiDF16_EEvT3_S1_T2_PKT4_S1_PS3_PKS2_S8_21rocsparse_index_base_ ; -- Begin function _ZN9rocsparseL24sddmm_coox_sample_kernelILi512ELb0EDF16_iiDF16_EEvT3_S1_T2_PKT4_S1_PS3_PKS2_S8_21rocsparse_index_base_
	.p2align	8
	.type	_ZN9rocsparseL24sddmm_coox_sample_kernelILi512ELb0EDF16_iiDF16_EEvT3_S1_T2_PKT4_S1_PS3_PKS2_S8_21rocsparse_index_base_,@function
_ZN9rocsparseL24sddmm_coox_sample_kernelILi512ELb0EDF16_iiDF16_EEvT3_S1_T2_PKT4_S1_PS3_PKS2_S8_21rocsparse_index_base_: ; @_ZN9rocsparseL24sddmm_coox_sample_kernelILi512ELb0EDF16_iiDF16_EEvT3_S1_T2_PKT4_S1_PS3_PKS2_S8_21rocsparse_index_base_
; %bb.0:
	s_load_dword s1, s[4:5], 0x8
	v_lshl_or_b32 v0, s6, 9, v0
	s_mov_b32 s0, exec_lo
	s_waitcnt lgkmcnt(0)
	v_cmpx_gt_u32_e64 s1, v0
	s_cbranch_execz .LBB0_3
; %bb.1:
	s_clause 0x5
	s_load_dword s12, s[4:5], 0x38
	s_load_dword s0, s[4:5], 0x40
	s_load_dwordx4 s[8:11], s[4:5], 0x20
	s_load_dwordx2 s[2:3], s[4:5], 0x30
	s_load_dwordx2 s[6:7], s[4:5], 0x10
	s_load_dword s4, s[4:5], 0x18
	v_mov_b32_e32 v1, 0
	s_mov_b32 s13, 0
	s_waitcnt lgkmcnt(0)
	s_lshl_b32 s5, s0, 9
	s_inst_prefetch 0x1
	.p2align	6
.LBB0_2:                                ; =>This Inner Loop Header: Depth=1
	v_lshlrev_b64 v[2:3], 2, v[0:1]
	v_add_co_u32 v4, vcc_lo, s10, v2
	v_add_co_ci_u32_e64 v5, null, s11, v3, vcc_lo
	v_add_co_u32 v2, vcc_lo, s2, v2
	v_add_co_ci_u32_e64 v3, null, s3, v3, vcc_lo
	global_load_dword v4, v[4:5], off
	global_load_dword v3, v[2:3], off
	s_waitcnt vmcnt(1)
	v_subrev_nc_u32_e32 v2, s12, v4
	s_waitcnt vmcnt(0)
	v_subrev_nc_u32_e32 v3, s12, v3
	v_mad_u64_u32 v[2:3], null, v3, s4, v[2:3]
	v_ashrrev_i32_e32 v3, 31, v2
	v_lshlrev_b64 v[2:3], 1, v[2:3]
	v_add_co_u32 v2, vcc_lo, s6, v2
	v_add_co_ci_u32_e64 v3, null, s7, v3, vcc_lo
	global_load_ushort v4, v[2:3], off
	v_lshlrev_b64 v[2:3], 1, v[0:1]
	v_add_nc_u32_e32 v0, s5, v0
	v_cmp_le_u32_e32 vcc_lo, s1, v0
	v_add_co_u32 v2, s0, s8, v2
	v_add_co_ci_u32_e64 v3, null, s9, v3, s0
	s_or_b32 s13, vcc_lo, s13
	s_waitcnt vmcnt(0)
	global_store_short v[2:3], v4, off
	s_andn2_b32 exec_lo, exec_lo, s13
	s_cbranch_execnz .LBB0_2
.LBB0_3:
	s_inst_prefetch 0x2
	s_endpgm
	.section	.rodata,"a",@progbits
	.p2align	6, 0x0
	.amdhsa_kernel _ZN9rocsparseL24sddmm_coox_sample_kernelILi512ELb0EDF16_iiDF16_EEvT3_S1_T2_PKT4_S1_PS3_PKS2_S8_21rocsparse_index_base_
		.amdhsa_group_segment_fixed_size 0
		.amdhsa_private_segment_fixed_size 0
		.amdhsa_kernarg_size 320
		.amdhsa_user_sgpr_count 6
		.amdhsa_user_sgpr_private_segment_buffer 1
		.amdhsa_user_sgpr_dispatch_ptr 0
		.amdhsa_user_sgpr_queue_ptr 0
		.amdhsa_user_sgpr_kernarg_segment_ptr 1
		.amdhsa_user_sgpr_dispatch_id 0
		.amdhsa_user_sgpr_flat_scratch_init 0
		.amdhsa_user_sgpr_private_segment_size 0
		.amdhsa_wavefront_size32 1
		.amdhsa_uses_dynamic_stack 0
		.amdhsa_system_sgpr_private_segment_wavefront_offset 0
		.amdhsa_system_sgpr_workgroup_id_x 1
		.amdhsa_system_sgpr_workgroup_id_y 0
		.amdhsa_system_sgpr_workgroup_id_z 0
		.amdhsa_system_sgpr_workgroup_info 0
		.amdhsa_system_vgpr_workitem_id 0
		.amdhsa_next_free_vgpr 6
		.amdhsa_next_free_sgpr 14
		.amdhsa_reserve_vcc 1
		.amdhsa_reserve_flat_scratch 0
		.amdhsa_float_round_mode_32 0
		.amdhsa_float_round_mode_16_64 0
		.amdhsa_float_denorm_mode_32 3
		.amdhsa_float_denorm_mode_16_64 3
		.amdhsa_dx10_clamp 1
		.amdhsa_ieee_mode 1
		.amdhsa_fp16_overflow 0
		.amdhsa_workgroup_processor_mode 1
		.amdhsa_memory_ordered 1
		.amdhsa_forward_progress 1
		.amdhsa_shared_vgpr_count 0
		.amdhsa_exception_fp_ieee_invalid_op 0
		.amdhsa_exception_fp_denorm_src 0
		.amdhsa_exception_fp_ieee_div_zero 0
		.amdhsa_exception_fp_ieee_overflow 0
		.amdhsa_exception_fp_ieee_underflow 0
		.amdhsa_exception_fp_ieee_inexact 0
		.amdhsa_exception_int_div_zero 0
	.end_amdhsa_kernel
	.section	.text._ZN9rocsparseL24sddmm_coox_sample_kernelILi512ELb0EDF16_iiDF16_EEvT3_S1_T2_PKT4_S1_PS3_PKS2_S8_21rocsparse_index_base_,"axG",@progbits,_ZN9rocsparseL24sddmm_coox_sample_kernelILi512ELb0EDF16_iiDF16_EEvT3_S1_T2_PKT4_S1_PS3_PKS2_S8_21rocsparse_index_base_,comdat
.Lfunc_end0:
	.size	_ZN9rocsparseL24sddmm_coox_sample_kernelILi512ELb0EDF16_iiDF16_EEvT3_S1_T2_PKT4_S1_PS3_PKS2_S8_21rocsparse_index_base_, .Lfunc_end0-_ZN9rocsparseL24sddmm_coox_sample_kernelILi512ELb0EDF16_iiDF16_EEvT3_S1_T2_PKT4_S1_PS3_PKS2_S8_21rocsparse_index_base_
                                        ; -- End function
	.set _ZN9rocsparseL24sddmm_coox_sample_kernelILi512ELb0EDF16_iiDF16_EEvT3_S1_T2_PKT4_S1_PS3_PKS2_S8_21rocsparse_index_base_.num_vgpr, 6
	.set _ZN9rocsparseL24sddmm_coox_sample_kernelILi512ELb0EDF16_iiDF16_EEvT3_S1_T2_PKT4_S1_PS3_PKS2_S8_21rocsparse_index_base_.num_agpr, 0
	.set _ZN9rocsparseL24sddmm_coox_sample_kernelILi512ELb0EDF16_iiDF16_EEvT3_S1_T2_PKT4_S1_PS3_PKS2_S8_21rocsparse_index_base_.numbered_sgpr, 14
	.set _ZN9rocsparseL24sddmm_coox_sample_kernelILi512ELb0EDF16_iiDF16_EEvT3_S1_T2_PKT4_S1_PS3_PKS2_S8_21rocsparse_index_base_.num_named_barrier, 0
	.set _ZN9rocsparseL24sddmm_coox_sample_kernelILi512ELb0EDF16_iiDF16_EEvT3_S1_T2_PKT4_S1_PS3_PKS2_S8_21rocsparse_index_base_.private_seg_size, 0
	.set _ZN9rocsparseL24sddmm_coox_sample_kernelILi512ELb0EDF16_iiDF16_EEvT3_S1_T2_PKT4_S1_PS3_PKS2_S8_21rocsparse_index_base_.uses_vcc, 1
	.set _ZN9rocsparseL24sddmm_coox_sample_kernelILi512ELb0EDF16_iiDF16_EEvT3_S1_T2_PKT4_S1_PS3_PKS2_S8_21rocsparse_index_base_.uses_flat_scratch, 0
	.set _ZN9rocsparseL24sddmm_coox_sample_kernelILi512ELb0EDF16_iiDF16_EEvT3_S1_T2_PKT4_S1_PS3_PKS2_S8_21rocsparse_index_base_.has_dyn_sized_stack, 0
	.set _ZN9rocsparseL24sddmm_coox_sample_kernelILi512ELb0EDF16_iiDF16_EEvT3_S1_T2_PKT4_S1_PS3_PKS2_S8_21rocsparse_index_base_.has_recursion, 0
	.set _ZN9rocsparseL24sddmm_coox_sample_kernelILi512ELb0EDF16_iiDF16_EEvT3_S1_T2_PKT4_S1_PS3_PKS2_S8_21rocsparse_index_base_.has_indirect_call, 0
	.section	.AMDGPU.csdata,"",@progbits
; Kernel info:
; codeLenInByte = 308
; TotalNumSgprs: 16
; NumVgprs: 6
; ScratchSize: 0
; MemoryBound: 0
; FloatMode: 240
; IeeeMode: 1
; LDSByteSize: 0 bytes/workgroup (compile time only)
; SGPRBlocks: 0
; VGPRBlocks: 0
; NumSGPRsForWavesPerEU: 16
; NumVGPRsForWavesPerEU: 6
; Occupancy: 16
; WaveLimiterHint : 1
; COMPUTE_PGM_RSRC2:SCRATCH_EN: 0
; COMPUTE_PGM_RSRC2:USER_SGPR: 6
; COMPUTE_PGM_RSRC2:TRAP_HANDLER: 0
; COMPUTE_PGM_RSRC2:TGID_X_EN: 1
; COMPUTE_PGM_RSRC2:TGID_Y_EN: 0
; COMPUTE_PGM_RSRC2:TGID_Z_EN: 0
; COMPUTE_PGM_RSRC2:TIDIG_COMP_CNT: 0
	.section	.text._ZN9rocsparseL17sddmm_coox_kernelILi512ELi8ELb0EDF16_iiDF16_DF16_DF16_EEv20rocsparse_operation_S1_16rocsparse_order_S2_T4_S3_S3_T3_NS_24const_host_device_scalarIT2_EEPKT5_lPKT6_lS7_PT7_PKS4_SH_21rocsparse_index_base_b,"axG",@progbits,_ZN9rocsparseL17sddmm_coox_kernelILi512ELi8ELb0EDF16_iiDF16_DF16_DF16_EEv20rocsparse_operation_S1_16rocsparse_order_S2_T4_S3_S3_T3_NS_24const_host_device_scalarIT2_EEPKT5_lPKT6_lS7_PT7_PKS4_SH_21rocsparse_index_base_b,comdat
	.globl	_ZN9rocsparseL17sddmm_coox_kernelILi512ELi8ELb0EDF16_iiDF16_DF16_DF16_EEv20rocsparse_operation_S1_16rocsparse_order_S2_T4_S3_S3_T3_NS_24const_host_device_scalarIT2_EEPKT5_lPKT6_lS7_PT7_PKS4_SH_21rocsparse_index_base_b ; -- Begin function _ZN9rocsparseL17sddmm_coox_kernelILi512ELi8ELb0EDF16_iiDF16_DF16_DF16_EEv20rocsparse_operation_S1_16rocsparse_order_S2_T4_S3_S3_T3_NS_24const_host_device_scalarIT2_EEPKT5_lPKT6_lS7_PT7_PKS4_SH_21rocsparse_index_base_b
	.p2align	8
	.type	_ZN9rocsparseL17sddmm_coox_kernelILi512ELi8ELb0EDF16_iiDF16_DF16_DF16_EEv20rocsparse_operation_S1_16rocsparse_order_S2_T4_S3_S3_T3_NS_24const_host_device_scalarIT2_EEPKT5_lPKT6_lS7_PT7_PKS4_SH_21rocsparse_index_base_b,@function
_ZN9rocsparseL17sddmm_coox_kernelILi512ELi8ELb0EDF16_iiDF16_DF16_DF16_EEv20rocsparse_operation_S1_16rocsparse_order_S2_T4_S3_S3_T3_NS_24const_host_device_scalarIT2_EEPKT5_lPKT6_lS7_PT7_PKS4_SH_21rocsparse_index_base_b: ; @_ZN9rocsparseL17sddmm_coox_kernelILi512ELi8ELb0EDF16_iiDF16_DF16_DF16_EEv20rocsparse_operation_S1_16rocsparse_order_S2_T4_S3_S3_T3_NS_24const_host_device_scalarIT2_EEPKT5_lPKT6_lS7_PT7_PKS4_SH_21rocsparse_index_base_b
; %bb.0:
	s_clause 0x2
	s_load_dwordx2 s[12:13], s[4:5], 0x68
	s_load_dwordx2 s[0:1], s[4:5], 0x20
	s_load_dwordx4 s[8:11], s[4:5], 0x40
	s_waitcnt lgkmcnt(0)
	s_bitcmp1_b32 s13, 0
	v_mov_b32_e32 v9, s0
	s_cselect_b32 s2, -1, 0
	s_and_b32 vcc_lo, exec_lo, s2
	s_xor_b32 s2, s2, -1
	s_cbranch_vccnz .LBB1_2
; %bb.1:
	v_mov_b32_e32 v1, 0
	global_load_ushort v9, v1, s[0:1]
.LBB1_2:
	v_mov_b32_e32 v10, s10
	s_andn2_b32 vcc_lo, exec_lo, s2
	s_cbranch_vccnz .LBB1_4
; %bb.3:
	v_mov_b32_e32 v1, 0
	global_load_ushort v10, v1, s[10:11]
.LBB1_4:
	s_waitcnt vmcnt(0)
	v_cmp_eq_f16_e32 vcc_lo, 0, v9
	v_cmp_eq_f16_e64 s0, 1.0, v10
	s_and_b32 s0, vcc_lo, s0
	s_and_b32 vcc_lo, exec_lo, s0
	s_cbranch_vccnz .LBB1_34
; %bb.5:
	s_load_dwordx2 s[10:11], s[4:5], 0x18
	v_lshrrev_b32_e32 v11, 3, v0
	s_mov_b32 s0, exec_lo
	v_lshl_or_b32 v1, s6, 6, v11
	s_waitcnt lgkmcnt(0)
	v_cmpx_gt_i32_e64 s11, v1
	s_cbranch_execz .LBB1_34
; %bb.6:
	s_load_dwordx4 s[0:3], s[4:5], 0x58
	v_ashrrev_i32_e32 v2, 31, v1
	v_lshlrev_b64 v[3:4], 2, v[1:2]
	s_waitcnt lgkmcnt(0)
	v_add_co_u32 v5, vcc_lo, s0, v3
	v_add_co_ci_u32_e64 v6, null, s1, v4, vcc_lo
	v_add_co_u32 v3, vcc_lo, s2, v3
	v_add_co_ci_u32_e64 v4, null, s3, v4, vcc_lo
	global_load_dword v5, v[5:6], off
	global_load_dword v7, v[3:4], off
	s_clause 0x1
	s_load_dwordx4 s[0:3], s[4:5], 0x0
	s_load_dwordx2 s[6:7], s[4:5], 0x30
	s_waitcnt lgkmcnt(0)
	s_cmp_eq_u32 s2, 1
	s_cselect_b32 s11, -1, 0
	s_cmpk_eq_i32 s0, 0x6f
	s_cselect_b32 s13, -1, 0
	s_cmpk_lg_i32 s0, 0x6f
	s_cselect_b32 s0, -1, 0
	s_cmp_lg_u32 s2, 1
	s_waitcnt vmcnt(1)
	v_subrev_nc_u32_e32 v5, s12, v5
	v_ashrrev_i32_e32 v6, 31, v5
	s_cbranch_scc0 .LBB1_10
; %bb.7:
	v_mov_b32_e32 v3, v5
	v_mov_b32_e32 v4, v6
	s_andn2_b32 vcc_lo, exec_lo, s13
	s_cbranch_vccnz .LBB1_9
; %bb.8:
	v_mul_lo_u32 v8, s7, v5
	v_mul_lo_u32 v12, s6, v6
	v_mad_u64_u32 v[3:4], null, s6, v5, 0
	v_add3_u32 v4, v4, v12, v8
.LBB1_9:
	s_cbranch_execz .LBB1_11
	s_branch .LBB1_14
.LBB1_10:
                                        ; implicit-def: $vgpr3_vgpr4
.LBB1_11:
	s_andn2_b32 vcc_lo, exec_lo, s0
	s_cbranch_vccnz .LBB1_13
; %bb.12:
	v_mul_lo_u32 v3, s7, v5
	v_mul_lo_u32 v4, s6, v6
	v_mad_u64_u32 v[5:6], null, s6, v5, 0
	v_add3_u32 v6, v6, v4, v3
.LBB1_13:
	v_mov_b32_e32 v3, v5
	v_mov_b32_e32 v4, v6
.LBB1_14:
	s_waitcnt vmcnt(0)
	v_subrev_nc_u32_e32 v5, s12, v7
	s_cmp_eq_u32 s3, 1
	s_cselect_b32 s7, -1, 0
	s_cmpk_eq_i32 s1, 0x6f
	v_ashrrev_i32_e32 v6, 31, v5
	s_cselect_b32 s12, -1, 0
	s_cmpk_lg_i32 s1, 0x6f
	s_cselect_b32 s0, -1, 0
	s_cmp_lg_u32 s3, 1
	s_cbranch_scc0 .LBB1_18
; %bb.15:
	v_mov_b32_e32 v8, v6
	v_mov_b32_e32 v7, v5
	s_andn2_b32 vcc_lo, exec_lo, s0
	s_cbranch_vccnz .LBB1_17
; %bb.16:
	v_mul_lo_u32 v12, s9, v5
	v_mul_lo_u32 v13, s8, v6
	v_mad_u64_u32 v[7:8], null, s8, v5, 0
	v_add3_u32 v8, v8, v13, v12
.LBB1_17:
	s_cbranch_execz .LBB1_19
	s_branch .LBB1_22
.LBB1_18:
                                        ; implicit-def: $vgpr7_vgpr8
.LBB1_19:
	s_andn2_b32 vcc_lo, exec_lo, s12
	s_cbranch_vccnz .LBB1_21
; %bb.20:
	v_mul_lo_u32 v7, s9, v5
	v_mul_lo_u32 v8, s8, v6
	v_mad_u64_u32 v[5:6], null, s8, v5, 0
	v_add3_u32 v6, v6, v8, v7
.LBB1_21:
	v_mov_b32_e32 v8, v6
	v_mov_b32_e32 v7, v5
.LBB1_22:
	s_load_dwordx2 s[0:1], s[4:5], 0x50
	v_and_b32_e32 v0, 7, v0
	v_mov_b32_e32 v12, 0
	s_mov_b32 s2, exec_lo
	v_cmpx_gt_i32_e64 s10, v0
	s_cbranch_execz .LBB1_26
; %bb.23:
	s_clause 0x1
	s_load_dwordx2 s[14:15], s[4:5], 0x38
	s_load_dwordx2 s[4:5], s[4:5], 0x28
	s_xor_b32 s3, s13, s11
	v_lshlrev_b64 v[7:8], 1, v[7:8]
	s_and_b32 s3, s3, exec_lo
	v_lshlrev_b64 v[13:14], 1, v[3:4]
	s_cselect_b32 s6, 1, s6
	s_xor_b32 s3, s12, s7
	v_mul_lo_u32 v3, s6, v0
	s_and_b32 s3, s3, exec_lo
	s_cselect_b32 s3, s8, 1
	v_mov_b32_e32 v12, 0
	v_mul_lo_u32 v5, s3, v0
	v_mov_b32_e32 v15, v0
	s_lshl_b32 s3, s3, 3
	s_waitcnt lgkmcnt(0)
	v_add_co_u32 v7, vcc_lo, s14, v7
	v_add_co_ci_u32_e64 v8, null, s15, v8, vcc_lo
	v_add_co_u32 v13, vcc_lo, s4, v13
	v_add_co_ci_u32_e64 v14, null, s5, v14, vcc_lo
	s_lshl_b32 s5, s6, 3
	s_mov_b32 s4, 0
	.p2align	6
.LBB1_24:                               ; =>This Inner Loop Header: Depth=1
	v_ashrrev_i32_e32 v4, 31, v3
	v_ashrrev_i32_e32 v6, 31, v5
	v_add_nc_u32_e32 v15, 8, v15
	v_lshlrev_b64 v[16:17], 1, v[3:4]
	v_lshlrev_b64 v[18:19], 1, v[5:6]
	v_add_nc_u32_e32 v5, s3, v5
	v_add_nc_u32_e32 v3, s5, v3
	v_add_co_u32 v16, vcc_lo, v13, v16
	v_add_co_ci_u32_e64 v17, null, v14, v17, vcc_lo
	v_add_co_u32 v18, vcc_lo, v7, v18
	v_add_co_ci_u32_e64 v19, null, v8, v19, vcc_lo
	global_load_ushort v4, v[16:17], off
	global_load_ushort v6, v[18:19], off
	v_cmp_le_i32_e32 vcc_lo, s10, v15
	s_or_b32 s4, vcc_lo, s4
	s_waitcnt vmcnt(0)
	v_fmac_f16_e32 v12, v4, v6
	s_andn2_b32 exec_lo, exec_lo, s4
	s_cbranch_execnz .LBB1_24
; %bb.25:
	s_or_b32 exec_lo, exec_lo, s4
.LBB1_26:
	s_or_b32 exec_lo, exec_lo, s2
	v_lshlrev_b32_e32 v3, 4, v11
	s_mov_b32 s2, exec_lo
	v_lshl_or_b32 v4, v0, 1, v3
	ds_write_b16 v4, v12
	s_waitcnt lgkmcnt(0)
	s_barrier
	buffer_gl0_inv
	v_cmpx_gt_u32_e32 4, v0
	s_cbranch_execz .LBB1_28
; %bb.27:
	ds_read_u16 v5, v4
	ds_read_u16 v6, v4 offset:8
	s_waitcnt lgkmcnt(0)
	v_add_f16_e32 v5, v6, v5
	ds_write_b16 v4, v5
.LBB1_28:
	s_or_b32 exec_lo, exec_lo, s2
	s_mov_b32 s2, exec_lo
	s_waitcnt lgkmcnt(0)
	s_barrier
	buffer_gl0_inv
	v_cmpx_gt_u32_e32 2, v0
	s_cbranch_execz .LBB1_30
; %bb.29:
	ds_read_u16 v5, v4
	ds_read_u16 v6, v4 offset:4
	s_waitcnt lgkmcnt(0)
	v_add_f16_e32 v5, v6, v5
	ds_write_b16 v4, v5
.LBB1_30:
	s_or_b32 exec_lo, exec_lo, s2
	v_cmp_eq_u32_e32 vcc_lo, 0, v0
	s_waitcnt lgkmcnt(0)
	s_barrier
	buffer_gl0_inv
	s_and_saveexec_b32 s2, vcc_lo
	s_cbranch_execz .LBB1_32
; %bb.31:
	ds_read_u16 v0, v4
	ds_read_u16 v5, v4 offset:2
	s_waitcnt lgkmcnt(0)
	v_add_f16_e32 v0, v5, v0
	ds_write_b16 v4, v0
.LBB1_32:
	s_or_b32 exec_lo, exec_lo, s2
	s_waitcnt lgkmcnt(0)
	s_barrier
	buffer_gl0_inv
	s_and_b32 exec_lo, exec_lo, vcc_lo
	s_cbranch_execz .LBB1_34
; %bb.33:
	v_lshlrev_b64 v[0:1], 1, v[1:2]
	ds_read_u16 v3, v3
	v_add_co_u32 v0, vcc_lo, s0, v0
	v_add_co_ci_u32_e64 v1, null, s1, v1, vcc_lo
	global_load_ushort v2, v[0:1], off
	s_waitcnt lgkmcnt(0)
	v_mul_f16_e32 v3, v9, v3
	s_waitcnt vmcnt(0)
	v_fmac_f16_e32 v3, v10, v2
	global_store_short v[0:1], v3, off
.LBB1_34:
	s_endpgm
	.section	.rodata,"a",@progbits
	.p2align	6, 0x0
	.amdhsa_kernel _ZN9rocsparseL17sddmm_coox_kernelILi512ELi8ELb0EDF16_iiDF16_DF16_DF16_EEv20rocsparse_operation_S1_16rocsparse_order_S2_T4_S3_S3_T3_NS_24const_host_device_scalarIT2_EEPKT5_lPKT6_lS7_PT7_PKS4_SH_21rocsparse_index_base_b
		.amdhsa_group_segment_fixed_size 1024
		.amdhsa_private_segment_fixed_size 0
		.amdhsa_kernarg_size 112
		.amdhsa_user_sgpr_count 6
		.amdhsa_user_sgpr_private_segment_buffer 1
		.amdhsa_user_sgpr_dispatch_ptr 0
		.amdhsa_user_sgpr_queue_ptr 0
		.amdhsa_user_sgpr_kernarg_segment_ptr 1
		.amdhsa_user_sgpr_dispatch_id 0
		.amdhsa_user_sgpr_flat_scratch_init 0
		.amdhsa_user_sgpr_private_segment_size 0
		.amdhsa_wavefront_size32 1
		.amdhsa_uses_dynamic_stack 0
		.amdhsa_system_sgpr_private_segment_wavefront_offset 0
		.amdhsa_system_sgpr_workgroup_id_x 1
		.amdhsa_system_sgpr_workgroup_id_y 0
		.amdhsa_system_sgpr_workgroup_id_z 0
		.amdhsa_system_sgpr_workgroup_info 0
		.amdhsa_system_vgpr_workitem_id 0
		.amdhsa_next_free_vgpr 20
		.amdhsa_next_free_sgpr 16
		.amdhsa_reserve_vcc 1
		.amdhsa_reserve_flat_scratch 0
		.amdhsa_float_round_mode_32 0
		.amdhsa_float_round_mode_16_64 0
		.amdhsa_float_denorm_mode_32 3
		.amdhsa_float_denorm_mode_16_64 3
		.amdhsa_dx10_clamp 1
		.amdhsa_ieee_mode 1
		.amdhsa_fp16_overflow 0
		.amdhsa_workgroup_processor_mode 1
		.amdhsa_memory_ordered 1
		.amdhsa_forward_progress 1
		.amdhsa_shared_vgpr_count 0
		.amdhsa_exception_fp_ieee_invalid_op 0
		.amdhsa_exception_fp_denorm_src 0
		.amdhsa_exception_fp_ieee_div_zero 0
		.amdhsa_exception_fp_ieee_overflow 0
		.amdhsa_exception_fp_ieee_underflow 0
		.amdhsa_exception_fp_ieee_inexact 0
		.amdhsa_exception_int_div_zero 0
	.end_amdhsa_kernel
	.section	.text._ZN9rocsparseL17sddmm_coox_kernelILi512ELi8ELb0EDF16_iiDF16_DF16_DF16_EEv20rocsparse_operation_S1_16rocsparse_order_S2_T4_S3_S3_T3_NS_24const_host_device_scalarIT2_EEPKT5_lPKT6_lS7_PT7_PKS4_SH_21rocsparse_index_base_b,"axG",@progbits,_ZN9rocsparseL17sddmm_coox_kernelILi512ELi8ELb0EDF16_iiDF16_DF16_DF16_EEv20rocsparse_operation_S1_16rocsparse_order_S2_T4_S3_S3_T3_NS_24const_host_device_scalarIT2_EEPKT5_lPKT6_lS7_PT7_PKS4_SH_21rocsparse_index_base_b,comdat
.Lfunc_end1:
	.size	_ZN9rocsparseL17sddmm_coox_kernelILi512ELi8ELb0EDF16_iiDF16_DF16_DF16_EEv20rocsparse_operation_S1_16rocsparse_order_S2_T4_S3_S3_T3_NS_24const_host_device_scalarIT2_EEPKT5_lPKT6_lS7_PT7_PKS4_SH_21rocsparse_index_base_b, .Lfunc_end1-_ZN9rocsparseL17sddmm_coox_kernelILi512ELi8ELb0EDF16_iiDF16_DF16_DF16_EEv20rocsparse_operation_S1_16rocsparse_order_S2_T4_S3_S3_T3_NS_24const_host_device_scalarIT2_EEPKT5_lPKT6_lS7_PT7_PKS4_SH_21rocsparse_index_base_b
                                        ; -- End function
	.set _ZN9rocsparseL17sddmm_coox_kernelILi512ELi8ELb0EDF16_iiDF16_DF16_DF16_EEv20rocsparse_operation_S1_16rocsparse_order_S2_T4_S3_S3_T3_NS_24const_host_device_scalarIT2_EEPKT5_lPKT6_lS7_PT7_PKS4_SH_21rocsparse_index_base_b.num_vgpr, 20
	.set _ZN9rocsparseL17sddmm_coox_kernelILi512ELi8ELb0EDF16_iiDF16_DF16_DF16_EEv20rocsparse_operation_S1_16rocsparse_order_S2_T4_S3_S3_T3_NS_24const_host_device_scalarIT2_EEPKT5_lPKT6_lS7_PT7_PKS4_SH_21rocsparse_index_base_b.num_agpr, 0
	.set _ZN9rocsparseL17sddmm_coox_kernelILi512ELi8ELb0EDF16_iiDF16_DF16_DF16_EEv20rocsparse_operation_S1_16rocsparse_order_S2_T4_S3_S3_T3_NS_24const_host_device_scalarIT2_EEPKT5_lPKT6_lS7_PT7_PKS4_SH_21rocsparse_index_base_b.numbered_sgpr, 16
	.set _ZN9rocsparseL17sddmm_coox_kernelILi512ELi8ELb0EDF16_iiDF16_DF16_DF16_EEv20rocsparse_operation_S1_16rocsparse_order_S2_T4_S3_S3_T3_NS_24const_host_device_scalarIT2_EEPKT5_lPKT6_lS7_PT7_PKS4_SH_21rocsparse_index_base_b.num_named_barrier, 0
	.set _ZN9rocsparseL17sddmm_coox_kernelILi512ELi8ELb0EDF16_iiDF16_DF16_DF16_EEv20rocsparse_operation_S1_16rocsparse_order_S2_T4_S3_S3_T3_NS_24const_host_device_scalarIT2_EEPKT5_lPKT6_lS7_PT7_PKS4_SH_21rocsparse_index_base_b.private_seg_size, 0
	.set _ZN9rocsparseL17sddmm_coox_kernelILi512ELi8ELb0EDF16_iiDF16_DF16_DF16_EEv20rocsparse_operation_S1_16rocsparse_order_S2_T4_S3_S3_T3_NS_24const_host_device_scalarIT2_EEPKT5_lPKT6_lS7_PT7_PKS4_SH_21rocsparse_index_base_b.uses_vcc, 1
	.set _ZN9rocsparseL17sddmm_coox_kernelILi512ELi8ELb0EDF16_iiDF16_DF16_DF16_EEv20rocsparse_operation_S1_16rocsparse_order_S2_T4_S3_S3_T3_NS_24const_host_device_scalarIT2_EEPKT5_lPKT6_lS7_PT7_PKS4_SH_21rocsparse_index_base_b.uses_flat_scratch, 0
	.set _ZN9rocsparseL17sddmm_coox_kernelILi512ELi8ELb0EDF16_iiDF16_DF16_DF16_EEv20rocsparse_operation_S1_16rocsparse_order_S2_T4_S3_S3_T3_NS_24const_host_device_scalarIT2_EEPKT5_lPKT6_lS7_PT7_PKS4_SH_21rocsparse_index_base_b.has_dyn_sized_stack, 0
	.set _ZN9rocsparseL17sddmm_coox_kernelILi512ELi8ELb0EDF16_iiDF16_DF16_DF16_EEv20rocsparse_operation_S1_16rocsparse_order_S2_T4_S3_S3_T3_NS_24const_host_device_scalarIT2_EEPKT5_lPKT6_lS7_PT7_PKS4_SH_21rocsparse_index_base_b.has_recursion, 0
	.set _ZN9rocsparseL17sddmm_coox_kernelILi512ELi8ELb0EDF16_iiDF16_DF16_DF16_EEv20rocsparse_operation_S1_16rocsparse_order_S2_T4_S3_S3_T3_NS_24const_host_device_scalarIT2_EEPKT5_lPKT6_lS7_PT7_PKS4_SH_21rocsparse_index_base_b.has_indirect_call, 0
	.section	.AMDGPU.csdata,"",@progbits
; Kernel info:
; codeLenInByte = 1188
; TotalNumSgprs: 18
; NumVgprs: 20
; ScratchSize: 0
; MemoryBound: 0
; FloatMode: 240
; IeeeMode: 1
; LDSByteSize: 1024 bytes/workgroup (compile time only)
; SGPRBlocks: 0
; VGPRBlocks: 2
; NumSGPRsForWavesPerEU: 18
; NumVGPRsForWavesPerEU: 20
; Occupancy: 16
; WaveLimiterHint : 0
; COMPUTE_PGM_RSRC2:SCRATCH_EN: 0
; COMPUTE_PGM_RSRC2:USER_SGPR: 6
; COMPUTE_PGM_RSRC2:TRAP_HANDLER: 0
; COMPUTE_PGM_RSRC2:TGID_X_EN: 1
; COMPUTE_PGM_RSRC2:TGID_Y_EN: 0
; COMPUTE_PGM_RSRC2:TGID_Z_EN: 0
; COMPUTE_PGM_RSRC2:TIDIG_COMP_CNT: 0
	.section	.text._ZN9rocsparseL17sddmm_coox_kernelILi512ELi4ELb0EDF16_iiDF16_DF16_DF16_EEv20rocsparse_operation_S1_16rocsparse_order_S2_T4_S3_S3_T3_NS_24const_host_device_scalarIT2_EEPKT5_lPKT6_lS7_PT7_PKS4_SH_21rocsparse_index_base_b,"axG",@progbits,_ZN9rocsparseL17sddmm_coox_kernelILi512ELi4ELb0EDF16_iiDF16_DF16_DF16_EEv20rocsparse_operation_S1_16rocsparse_order_S2_T4_S3_S3_T3_NS_24const_host_device_scalarIT2_EEPKT5_lPKT6_lS7_PT7_PKS4_SH_21rocsparse_index_base_b,comdat
	.globl	_ZN9rocsparseL17sddmm_coox_kernelILi512ELi4ELb0EDF16_iiDF16_DF16_DF16_EEv20rocsparse_operation_S1_16rocsparse_order_S2_T4_S3_S3_T3_NS_24const_host_device_scalarIT2_EEPKT5_lPKT6_lS7_PT7_PKS4_SH_21rocsparse_index_base_b ; -- Begin function _ZN9rocsparseL17sddmm_coox_kernelILi512ELi4ELb0EDF16_iiDF16_DF16_DF16_EEv20rocsparse_operation_S1_16rocsparse_order_S2_T4_S3_S3_T3_NS_24const_host_device_scalarIT2_EEPKT5_lPKT6_lS7_PT7_PKS4_SH_21rocsparse_index_base_b
	.p2align	8
	.type	_ZN9rocsparseL17sddmm_coox_kernelILi512ELi4ELb0EDF16_iiDF16_DF16_DF16_EEv20rocsparse_operation_S1_16rocsparse_order_S2_T4_S3_S3_T3_NS_24const_host_device_scalarIT2_EEPKT5_lPKT6_lS7_PT7_PKS4_SH_21rocsparse_index_base_b,@function
_ZN9rocsparseL17sddmm_coox_kernelILi512ELi4ELb0EDF16_iiDF16_DF16_DF16_EEv20rocsparse_operation_S1_16rocsparse_order_S2_T4_S3_S3_T3_NS_24const_host_device_scalarIT2_EEPKT5_lPKT6_lS7_PT7_PKS4_SH_21rocsparse_index_base_b: ; @_ZN9rocsparseL17sddmm_coox_kernelILi512ELi4ELb0EDF16_iiDF16_DF16_DF16_EEv20rocsparse_operation_S1_16rocsparse_order_S2_T4_S3_S3_T3_NS_24const_host_device_scalarIT2_EEPKT5_lPKT6_lS7_PT7_PKS4_SH_21rocsparse_index_base_b
; %bb.0:
	s_clause 0x2
	s_load_dwordx2 s[12:13], s[4:5], 0x68
	s_load_dwordx2 s[0:1], s[4:5], 0x20
	s_load_dwordx4 s[8:11], s[4:5], 0x40
	s_waitcnt lgkmcnt(0)
	s_bitcmp1_b32 s13, 0
	v_mov_b32_e32 v9, s0
	s_cselect_b32 s2, -1, 0
	s_and_b32 vcc_lo, exec_lo, s2
	s_xor_b32 s2, s2, -1
	s_cbranch_vccnz .LBB2_2
; %bb.1:
	v_mov_b32_e32 v1, 0
	global_load_ushort v9, v1, s[0:1]
.LBB2_2:
	v_mov_b32_e32 v10, s10
	s_andn2_b32 vcc_lo, exec_lo, s2
	s_cbranch_vccnz .LBB2_4
; %bb.3:
	v_mov_b32_e32 v1, 0
	global_load_ushort v10, v1, s[10:11]
.LBB2_4:
	s_waitcnt vmcnt(0)
	v_cmp_eq_f16_e32 vcc_lo, 0, v9
	v_cmp_eq_f16_e64 s0, 1.0, v10
	s_and_b32 s0, vcc_lo, s0
	s_and_b32 vcc_lo, exec_lo, s0
	s_cbranch_vccnz .LBB2_32
; %bb.5:
	s_load_dwordx2 s[10:11], s[4:5], 0x18
	v_lshrrev_b32_e32 v11, 2, v0
	s_mov_b32 s0, exec_lo
	v_lshl_or_b32 v1, s6, 7, v11
	s_waitcnt lgkmcnt(0)
	v_cmpx_gt_i32_e64 s11, v1
	s_cbranch_execz .LBB2_32
; %bb.6:
	s_load_dwordx4 s[0:3], s[4:5], 0x58
	v_ashrrev_i32_e32 v2, 31, v1
	v_lshlrev_b64 v[3:4], 2, v[1:2]
	s_waitcnt lgkmcnt(0)
	v_add_co_u32 v5, vcc_lo, s0, v3
	v_add_co_ci_u32_e64 v6, null, s1, v4, vcc_lo
	v_add_co_u32 v3, vcc_lo, s2, v3
	v_add_co_ci_u32_e64 v4, null, s3, v4, vcc_lo
	global_load_dword v5, v[5:6], off
	global_load_dword v7, v[3:4], off
	s_clause 0x1
	s_load_dwordx4 s[0:3], s[4:5], 0x0
	s_load_dwordx2 s[6:7], s[4:5], 0x30
	s_waitcnt lgkmcnt(0)
	s_cmp_eq_u32 s2, 1
	s_cselect_b32 s11, -1, 0
	s_cmpk_eq_i32 s0, 0x6f
	s_cselect_b32 s13, -1, 0
	s_cmpk_lg_i32 s0, 0x6f
	s_cselect_b32 s0, -1, 0
	s_cmp_lg_u32 s2, 1
	s_waitcnt vmcnt(1)
	v_subrev_nc_u32_e32 v5, s12, v5
	v_ashrrev_i32_e32 v6, 31, v5
	s_cbranch_scc0 .LBB2_10
; %bb.7:
	v_mov_b32_e32 v3, v5
	v_mov_b32_e32 v4, v6
	s_andn2_b32 vcc_lo, exec_lo, s13
	s_cbranch_vccnz .LBB2_9
; %bb.8:
	v_mul_lo_u32 v8, s7, v5
	v_mul_lo_u32 v12, s6, v6
	v_mad_u64_u32 v[3:4], null, s6, v5, 0
	v_add3_u32 v4, v4, v12, v8
.LBB2_9:
	s_cbranch_execz .LBB2_11
	s_branch .LBB2_14
.LBB2_10:
                                        ; implicit-def: $vgpr3_vgpr4
.LBB2_11:
	s_andn2_b32 vcc_lo, exec_lo, s0
	s_cbranch_vccnz .LBB2_13
; %bb.12:
	v_mul_lo_u32 v3, s7, v5
	v_mul_lo_u32 v4, s6, v6
	v_mad_u64_u32 v[5:6], null, s6, v5, 0
	v_add3_u32 v6, v6, v4, v3
.LBB2_13:
	v_mov_b32_e32 v3, v5
	v_mov_b32_e32 v4, v6
.LBB2_14:
	s_waitcnt vmcnt(0)
	v_subrev_nc_u32_e32 v5, s12, v7
	s_cmp_eq_u32 s3, 1
	s_cselect_b32 s7, -1, 0
	s_cmpk_eq_i32 s1, 0x6f
	v_ashrrev_i32_e32 v6, 31, v5
	s_cselect_b32 s12, -1, 0
	s_cmpk_lg_i32 s1, 0x6f
	s_cselect_b32 s0, -1, 0
	s_cmp_lg_u32 s3, 1
	s_cbranch_scc0 .LBB2_18
; %bb.15:
	v_mov_b32_e32 v8, v6
	v_mov_b32_e32 v7, v5
	s_andn2_b32 vcc_lo, exec_lo, s0
	s_cbranch_vccnz .LBB2_17
; %bb.16:
	v_mul_lo_u32 v12, s9, v5
	v_mul_lo_u32 v13, s8, v6
	v_mad_u64_u32 v[7:8], null, s8, v5, 0
	v_add3_u32 v8, v8, v13, v12
.LBB2_17:
	s_cbranch_execz .LBB2_19
	s_branch .LBB2_22
.LBB2_18:
                                        ; implicit-def: $vgpr7_vgpr8
.LBB2_19:
	s_andn2_b32 vcc_lo, exec_lo, s12
	s_cbranch_vccnz .LBB2_21
; %bb.20:
	v_mul_lo_u32 v7, s9, v5
	v_mul_lo_u32 v8, s8, v6
	v_mad_u64_u32 v[5:6], null, s8, v5, 0
	v_add3_u32 v6, v6, v8, v7
.LBB2_21:
	v_mov_b32_e32 v8, v6
	v_mov_b32_e32 v7, v5
.LBB2_22:
	s_load_dwordx2 s[0:1], s[4:5], 0x50
	v_and_b32_e32 v0, 3, v0
	v_mov_b32_e32 v12, 0
	s_mov_b32 s2, exec_lo
	v_cmpx_gt_i32_e64 s10, v0
	s_cbranch_execz .LBB2_26
; %bb.23:
	s_clause 0x1
	s_load_dwordx2 s[14:15], s[4:5], 0x38
	s_load_dwordx2 s[4:5], s[4:5], 0x28
	s_xor_b32 s3, s13, s11
	v_lshlrev_b64 v[7:8], 1, v[7:8]
	s_and_b32 s3, s3, exec_lo
	v_lshlrev_b64 v[13:14], 1, v[3:4]
	s_cselect_b32 s6, 1, s6
	s_xor_b32 s3, s12, s7
	v_mul_lo_u32 v3, s6, v0
	s_and_b32 s3, s3, exec_lo
	s_cselect_b32 s3, s8, 1
	v_mov_b32_e32 v12, 0
	v_mul_lo_u32 v5, s3, v0
	v_mov_b32_e32 v15, v0
	s_lshl_b32 s3, s3, 2
	s_waitcnt lgkmcnt(0)
	v_add_co_u32 v7, vcc_lo, s14, v7
	v_add_co_ci_u32_e64 v8, null, s15, v8, vcc_lo
	v_add_co_u32 v13, vcc_lo, s4, v13
	v_add_co_ci_u32_e64 v14, null, s5, v14, vcc_lo
	s_lshl_b32 s5, s6, 2
	s_mov_b32 s4, 0
	.p2align	6
.LBB2_24:                               ; =>This Inner Loop Header: Depth=1
	v_ashrrev_i32_e32 v4, 31, v3
	v_ashrrev_i32_e32 v6, 31, v5
	v_add_nc_u32_e32 v15, 4, v15
	v_lshlrev_b64 v[16:17], 1, v[3:4]
	v_lshlrev_b64 v[18:19], 1, v[5:6]
	v_add_nc_u32_e32 v5, s3, v5
	v_add_nc_u32_e32 v3, s5, v3
	v_add_co_u32 v16, vcc_lo, v13, v16
	v_add_co_ci_u32_e64 v17, null, v14, v17, vcc_lo
	v_add_co_u32 v18, vcc_lo, v7, v18
	v_add_co_ci_u32_e64 v19, null, v8, v19, vcc_lo
	global_load_ushort v4, v[16:17], off
	global_load_ushort v6, v[18:19], off
	v_cmp_le_i32_e32 vcc_lo, s10, v15
	s_or_b32 s4, vcc_lo, s4
	s_waitcnt vmcnt(0)
	v_fmac_f16_e32 v12, v4, v6
	s_andn2_b32 exec_lo, exec_lo, s4
	s_cbranch_execnz .LBB2_24
; %bb.25:
	s_or_b32 exec_lo, exec_lo, s4
.LBB2_26:
	s_or_b32 exec_lo, exec_lo, s2
	v_lshlrev_b32_e32 v3, 3, v11
	s_mov_b32 s2, exec_lo
	v_lshl_or_b32 v4, v0, 1, v3
	ds_write_b16 v4, v12
	s_waitcnt lgkmcnt(0)
	s_barrier
	buffer_gl0_inv
	v_cmpx_gt_u32_e32 2, v0
	s_cbranch_execz .LBB2_28
; %bb.27:
	ds_read_u16 v5, v4
	ds_read_u16 v6, v4 offset:4
	s_waitcnt lgkmcnt(0)
	v_add_f16_e32 v5, v6, v5
	ds_write_b16 v4, v5
.LBB2_28:
	s_or_b32 exec_lo, exec_lo, s2
	v_cmp_eq_u32_e32 vcc_lo, 0, v0
	s_waitcnt lgkmcnt(0)
	s_barrier
	buffer_gl0_inv
	s_and_saveexec_b32 s2, vcc_lo
	s_cbranch_execz .LBB2_30
; %bb.29:
	ds_read_u16 v0, v4
	ds_read_u16 v5, v4 offset:2
	s_waitcnt lgkmcnt(0)
	v_add_f16_e32 v0, v5, v0
	ds_write_b16 v4, v0
.LBB2_30:
	s_or_b32 exec_lo, exec_lo, s2
	s_waitcnt lgkmcnt(0)
	s_barrier
	buffer_gl0_inv
	s_and_b32 exec_lo, exec_lo, vcc_lo
	s_cbranch_execz .LBB2_32
; %bb.31:
	v_lshlrev_b64 v[0:1], 1, v[1:2]
	ds_read_u16 v3, v3
	v_add_co_u32 v0, vcc_lo, s0, v0
	v_add_co_ci_u32_e64 v1, null, s1, v1, vcc_lo
	global_load_ushort v2, v[0:1], off
	s_waitcnt lgkmcnt(0)
	v_mul_f16_e32 v3, v9, v3
	s_waitcnt vmcnt(0)
	v_fmac_f16_e32 v3, v10, v2
	global_store_short v[0:1], v3, off
.LBB2_32:
	s_endpgm
	.section	.rodata,"a",@progbits
	.p2align	6, 0x0
	.amdhsa_kernel _ZN9rocsparseL17sddmm_coox_kernelILi512ELi4ELb0EDF16_iiDF16_DF16_DF16_EEv20rocsparse_operation_S1_16rocsparse_order_S2_T4_S3_S3_T3_NS_24const_host_device_scalarIT2_EEPKT5_lPKT6_lS7_PT7_PKS4_SH_21rocsparse_index_base_b
		.amdhsa_group_segment_fixed_size 1024
		.amdhsa_private_segment_fixed_size 0
		.amdhsa_kernarg_size 112
		.amdhsa_user_sgpr_count 6
		.amdhsa_user_sgpr_private_segment_buffer 1
		.amdhsa_user_sgpr_dispatch_ptr 0
		.amdhsa_user_sgpr_queue_ptr 0
		.amdhsa_user_sgpr_kernarg_segment_ptr 1
		.amdhsa_user_sgpr_dispatch_id 0
		.amdhsa_user_sgpr_flat_scratch_init 0
		.amdhsa_user_sgpr_private_segment_size 0
		.amdhsa_wavefront_size32 1
		.amdhsa_uses_dynamic_stack 0
		.amdhsa_system_sgpr_private_segment_wavefront_offset 0
		.amdhsa_system_sgpr_workgroup_id_x 1
		.amdhsa_system_sgpr_workgroup_id_y 0
		.amdhsa_system_sgpr_workgroup_id_z 0
		.amdhsa_system_sgpr_workgroup_info 0
		.amdhsa_system_vgpr_workitem_id 0
		.amdhsa_next_free_vgpr 20
		.amdhsa_next_free_sgpr 16
		.amdhsa_reserve_vcc 1
		.amdhsa_reserve_flat_scratch 0
		.amdhsa_float_round_mode_32 0
		.amdhsa_float_round_mode_16_64 0
		.amdhsa_float_denorm_mode_32 3
		.amdhsa_float_denorm_mode_16_64 3
		.amdhsa_dx10_clamp 1
		.amdhsa_ieee_mode 1
		.amdhsa_fp16_overflow 0
		.amdhsa_workgroup_processor_mode 1
		.amdhsa_memory_ordered 1
		.amdhsa_forward_progress 1
		.amdhsa_shared_vgpr_count 0
		.amdhsa_exception_fp_ieee_invalid_op 0
		.amdhsa_exception_fp_denorm_src 0
		.amdhsa_exception_fp_ieee_div_zero 0
		.amdhsa_exception_fp_ieee_overflow 0
		.amdhsa_exception_fp_ieee_underflow 0
		.amdhsa_exception_fp_ieee_inexact 0
		.amdhsa_exception_int_div_zero 0
	.end_amdhsa_kernel
	.section	.text._ZN9rocsparseL17sddmm_coox_kernelILi512ELi4ELb0EDF16_iiDF16_DF16_DF16_EEv20rocsparse_operation_S1_16rocsparse_order_S2_T4_S3_S3_T3_NS_24const_host_device_scalarIT2_EEPKT5_lPKT6_lS7_PT7_PKS4_SH_21rocsparse_index_base_b,"axG",@progbits,_ZN9rocsparseL17sddmm_coox_kernelILi512ELi4ELb0EDF16_iiDF16_DF16_DF16_EEv20rocsparse_operation_S1_16rocsparse_order_S2_T4_S3_S3_T3_NS_24const_host_device_scalarIT2_EEPKT5_lPKT6_lS7_PT7_PKS4_SH_21rocsparse_index_base_b,comdat
.Lfunc_end2:
	.size	_ZN9rocsparseL17sddmm_coox_kernelILi512ELi4ELb0EDF16_iiDF16_DF16_DF16_EEv20rocsparse_operation_S1_16rocsparse_order_S2_T4_S3_S3_T3_NS_24const_host_device_scalarIT2_EEPKT5_lPKT6_lS7_PT7_PKS4_SH_21rocsparse_index_base_b, .Lfunc_end2-_ZN9rocsparseL17sddmm_coox_kernelILi512ELi4ELb0EDF16_iiDF16_DF16_DF16_EEv20rocsparse_operation_S1_16rocsparse_order_S2_T4_S3_S3_T3_NS_24const_host_device_scalarIT2_EEPKT5_lPKT6_lS7_PT7_PKS4_SH_21rocsparse_index_base_b
                                        ; -- End function
	.set _ZN9rocsparseL17sddmm_coox_kernelILi512ELi4ELb0EDF16_iiDF16_DF16_DF16_EEv20rocsparse_operation_S1_16rocsparse_order_S2_T4_S3_S3_T3_NS_24const_host_device_scalarIT2_EEPKT5_lPKT6_lS7_PT7_PKS4_SH_21rocsparse_index_base_b.num_vgpr, 20
	.set _ZN9rocsparseL17sddmm_coox_kernelILi512ELi4ELb0EDF16_iiDF16_DF16_DF16_EEv20rocsparse_operation_S1_16rocsparse_order_S2_T4_S3_S3_T3_NS_24const_host_device_scalarIT2_EEPKT5_lPKT6_lS7_PT7_PKS4_SH_21rocsparse_index_base_b.num_agpr, 0
	.set _ZN9rocsparseL17sddmm_coox_kernelILi512ELi4ELb0EDF16_iiDF16_DF16_DF16_EEv20rocsparse_operation_S1_16rocsparse_order_S2_T4_S3_S3_T3_NS_24const_host_device_scalarIT2_EEPKT5_lPKT6_lS7_PT7_PKS4_SH_21rocsparse_index_base_b.numbered_sgpr, 16
	.set _ZN9rocsparseL17sddmm_coox_kernelILi512ELi4ELb0EDF16_iiDF16_DF16_DF16_EEv20rocsparse_operation_S1_16rocsparse_order_S2_T4_S3_S3_T3_NS_24const_host_device_scalarIT2_EEPKT5_lPKT6_lS7_PT7_PKS4_SH_21rocsparse_index_base_b.num_named_barrier, 0
	.set _ZN9rocsparseL17sddmm_coox_kernelILi512ELi4ELb0EDF16_iiDF16_DF16_DF16_EEv20rocsparse_operation_S1_16rocsparse_order_S2_T4_S3_S3_T3_NS_24const_host_device_scalarIT2_EEPKT5_lPKT6_lS7_PT7_PKS4_SH_21rocsparse_index_base_b.private_seg_size, 0
	.set _ZN9rocsparseL17sddmm_coox_kernelILi512ELi4ELb0EDF16_iiDF16_DF16_DF16_EEv20rocsparse_operation_S1_16rocsparse_order_S2_T4_S3_S3_T3_NS_24const_host_device_scalarIT2_EEPKT5_lPKT6_lS7_PT7_PKS4_SH_21rocsparse_index_base_b.uses_vcc, 1
	.set _ZN9rocsparseL17sddmm_coox_kernelILi512ELi4ELb0EDF16_iiDF16_DF16_DF16_EEv20rocsparse_operation_S1_16rocsparse_order_S2_T4_S3_S3_T3_NS_24const_host_device_scalarIT2_EEPKT5_lPKT6_lS7_PT7_PKS4_SH_21rocsparse_index_base_b.uses_flat_scratch, 0
	.set _ZN9rocsparseL17sddmm_coox_kernelILi512ELi4ELb0EDF16_iiDF16_DF16_DF16_EEv20rocsparse_operation_S1_16rocsparse_order_S2_T4_S3_S3_T3_NS_24const_host_device_scalarIT2_EEPKT5_lPKT6_lS7_PT7_PKS4_SH_21rocsparse_index_base_b.has_dyn_sized_stack, 0
	.set _ZN9rocsparseL17sddmm_coox_kernelILi512ELi4ELb0EDF16_iiDF16_DF16_DF16_EEv20rocsparse_operation_S1_16rocsparse_order_S2_T4_S3_S3_T3_NS_24const_host_device_scalarIT2_EEPKT5_lPKT6_lS7_PT7_PKS4_SH_21rocsparse_index_base_b.has_recursion, 0
	.set _ZN9rocsparseL17sddmm_coox_kernelILi512ELi4ELb0EDF16_iiDF16_DF16_DF16_EEv20rocsparse_operation_S1_16rocsparse_order_S2_T4_S3_S3_T3_NS_24const_host_device_scalarIT2_EEPKT5_lPKT6_lS7_PT7_PKS4_SH_21rocsparse_index_base_b.has_indirect_call, 0
	.section	.AMDGPU.csdata,"",@progbits
; Kernel info:
; codeLenInByte = 1124
; TotalNumSgprs: 18
; NumVgprs: 20
; ScratchSize: 0
; MemoryBound: 0
; FloatMode: 240
; IeeeMode: 1
; LDSByteSize: 1024 bytes/workgroup (compile time only)
; SGPRBlocks: 0
; VGPRBlocks: 2
; NumSGPRsForWavesPerEU: 18
; NumVGPRsForWavesPerEU: 20
; Occupancy: 16
; WaveLimiterHint : 0
; COMPUTE_PGM_RSRC2:SCRATCH_EN: 0
; COMPUTE_PGM_RSRC2:USER_SGPR: 6
; COMPUTE_PGM_RSRC2:TRAP_HANDLER: 0
; COMPUTE_PGM_RSRC2:TGID_X_EN: 1
; COMPUTE_PGM_RSRC2:TGID_Y_EN: 0
; COMPUTE_PGM_RSRC2:TGID_Z_EN: 0
; COMPUTE_PGM_RSRC2:TIDIG_COMP_CNT: 0
	.section	.text._ZN9rocsparseL17sddmm_coox_kernelILi512ELi2ELb0EDF16_iiDF16_DF16_DF16_EEv20rocsparse_operation_S1_16rocsparse_order_S2_T4_S3_S3_T3_NS_24const_host_device_scalarIT2_EEPKT5_lPKT6_lS7_PT7_PKS4_SH_21rocsparse_index_base_b,"axG",@progbits,_ZN9rocsparseL17sddmm_coox_kernelILi512ELi2ELb0EDF16_iiDF16_DF16_DF16_EEv20rocsparse_operation_S1_16rocsparse_order_S2_T4_S3_S3_T3_NS_24const_host_device_scalarIT2_EEPKT5_lPKT6_lS7_PT7_PKS4_SH_21rocsparse_index_base_b,comdat
	.globl	_ZN9rocsparseL17sddmm_coox_kernelILi512ELi2ELb0EDF16_iiDF16_DF16_DF16_EEv20rocsparse_operation_S1_16rocsparse_order_S2_T4_S3_S3_T3_NS_24const_host_device_scalarIT2_EEPKT5_lPKT6_lS7_PT7_PKS4_SH_21rocsparse_index_base_b ; -- Begin function _ZN9rocsparseL17sddmm_coox_kernelILi512ELi2ELb0EDF16_iiDF16_DF16_DF16_EEv20rocsparse_operation_S1_16rocsparse_order_S2_T4_S3_S3_T3_NS_24const_host_device_scalarIT2_EEPKT5_lPKT6_lS7_PT7_PKS4_SH_21rocsparse_index_base_b
	.p2align	8
	.type	_ZN9rocsparseL17sddmm_coox_kernelILi512ELi2ELb0EDF16_iiDF16_DF16_DF16_EEv20rocsparse_operation_S1_16rocsparse_order_S2_T4_S3_S3_T3_NS_24const_host_device_scalarIT2_EEPKT5_lPKT6_lS7_PT7_PKS4_SH_21rocsparse_index_base_b,@function
_ZN9rocsparseL17sddmm_coox_kernelILi512ELi2ELb0EDF16_iiDF16_DF16_DF16_EEv20rocsparse_operation_S1_16rocsparse_order_S2_T4_S3_S3_T3_NS_24const_host_device_scalarIT2_EEPKT5_lPKT6_lS7_PT7_PKS4_SH_21rocsparse_index_base_b: ; @_ZN9rocsparseL17sddmm_coox_kernelILi512ELi2ELb0EDF16_iiDF16_DF16_DF16_EEv20rocsparse_operation_S1_16rocsparse_order_S2_T4_S3_S3_T3_NS_24const_host_device_scalarIT2_EEPKT5_lPKT6_lS7_PT7_PKS4_SH_21rocsparse_index_base_b
; %bb.0:
	s_clause 0x2
	s_load_dwordx2 s[12:13], s[4:5], 0x68
	s_load_dwordx2 s[0:1], s[4:5], 0x20
	s_load_dwordx4 s[8:11], s[4:5], 0x40
	s_waitcnt lgkmcnt(0)
	s_bitcmp1_b32 s13, 0
	v_mov_b32_e32 v9, s0
	s_cselect_b32 s2, -1, 0
	s_and_b32 vcc_lo, exec_lo, s2
	s_xor_b32 s2, s2, -1
	s_cbranch_vccnz .LBB3_2
; %bb.1:
	v_mov_b32_e32 v1, 0
	global_load_ushort v9, v1, s[0:1]
.LBB3_2:
	v_mov_b32_e32 v10, s10
	s_andn2_b32 vcc_lo, exec_lo, s2
	s_cbranch_vccnz .LBB3_4
; %bb.3:
	v_mov_b32_e32 v1, 0
	global_load_ushort v10, v1, s[10:11]
.LBB3_4:
	s_waitcnt vmcnt(0)
	v_cmp_eq_f16_e32 vcc_lo, 0, v9
	v_cmp_eq_f16_e64 s0, 1.0, v10
	s_and_b32 s0, vcc_lo, s0
	s_and_b32 vcc_lo, exec_lo, s0
	s_cbranch_vccnz .LBB3_30
; %bb.5:
	s_load_dwordx2 s[10:11], s[4:5], 0x18
	v_lshrrev_b32_e32 v11, 1, v0
	s_mov_b32 s0, exec_lo
	v_lshl_or_b32 v1, s6, 8, v11
	s_waitcnt lgkmcnt(0)
	v_cmpx_gt_i32_e64 s11, v1
	s_cbranch_execz .LBB3_30
; %bb.6:
	s_load_dwordx4 s[0:3], s[4:5], 0x58
	v_ashrrev_i32_e32 v2, 31, v1
	v_lshlrev_b64 v[3:4], 2, v[1:2]
	s_waitcnt lgkmcnt(0)
	v_add_co_u32 v5, vcc_lo, s0, v3
	v_add_co_ci_u32_e64 v6, null, s1, v4, vcc_lo
	v_add_co_u32 v3, vcc_lo, s2, v3
	v_add_co_ci_u32_e64 v4, null, s3, v4, vcc_lo
	global_load_dword v5, v[5:6], off
	global_load_dword v7, v[3:4], off
	s_clause 0x1
	s_load_dwordx4 s[0:3], s[4:5], 0x0
	s_load_dwordx2 s[6:7], s[4:5], 0x30
	s_waitcnt lgkmcnt(0)
	s_cmp_eq_u32 s2, 1
	s_cselect_b32 s11, -1, 0
	s_cmpk_eq_i32 s0, 0x6f
	s_cselect_b32 s13, -1, 0
	s_cmpk_lg_i32 s0, 0x6f
	s_cselect_b32 s0, -1, 0
	s_cmp_lg_u32 s2, 1
	s_waitcnt vmcnt(1)
	v_subrev_nc_u32_e32 v5, s12, v5
	v_ashrrev_i32_e32 v6, 31, v5
	s_cbranch_scc0 .LBB3_10
; %bb.7:
	v_mov_b32_e32 v3, v5
	v_mov_b32_e32 v4, v6
	s_andn2_b32 vcc_lo, exec_lo, s13
	s_cbranch_vccnz .LBB3_9
; %bb.8:
	v_mul_lo_u32 v8, s7, v5
	v_mul_lo_u32 v12, s6, v6
	v_mad_u64_u32 v[3:4], null, s6, v5, 0
	v_add3_u32 v4, v4, v12, v8
.LBB3_9:
	s_cbranch_execz .LBB3_11
	s_branch .LBB3_14
.LBB3_10:
                                        ; implicit-def: $vgpr3_vgpr4
.LBB3_11:
	s_andn2_b32 vcc_lo, exec_lo, s0
	s_cbranch_vccnz .LBB3_13
; %bb.12:
	v_mul_lo_u32 v3, s7, v5
	v_mul_lo_u32 v4, s6, v6
	v_mad_u64_u32 v[5:6], null, s6, v5, 0
	v_add3_u32 v6, v6, v4, v3
.LBB3_13:
	v_mov_b32_e32 v3, v5
	v_mov_b32_e32 v4, v6
.LBB3_14:
	s_waitcnt vmcnt(0)
	v_subrev_nc_u32_e32 v5, s12, v7
	s_cmp_eq_u32 s3, 1
	s_cselect_b32 s7, -1, 0
	s_cmpk_eq_i32 s1, 0x6f
	v_ashrrev_i32_e32 v6, 31, v5
	s_cselect_b32 s12, -1, 0
	s_cmpk_lg_i32 s1, 0x6f
	s_cselect_b32 s0, -1, 0
	s_cmp_lg_u32 s3, 1
	s_cbranch_scc0 .LBB3_18
; %bb.15:
	v_mov_b32_e32 v8, v6
	v_mov_b32_e32 v7, v5
	s_andn2_b32 vcc_lo, exec_lo, s0
	s_cbranch_vccnz .LBB3_17
; %bb.16:
	v_mul_lo_u32 v12, s9, v5
	v_mul_lo_u32 v13, s8, v6
	v_mad_u64_u32 v[7:8], null, s8, v5, 0
	v_add3_u32 v8, v8, v13, v12
.LBB3_17:
	s_cbranch_execz .LBB3_19
	s_branch .LBB3_22
.LBB3_18:
                                        ; implicit-def: $vgpr7_vgpr8
.LBB3_19:
	s_andn2_b32 vcc_lo, exec_lo, s12
	s_cbranch_vccnz .LBB3_21
; %bb.20:
	v_mul_lo_u32 v7, s9, v5
	v_mul_lo_u32 v8, s8, v6
	v_mad_u64_u32 v[5:6], null, s8, v5, 0
	v_add3_u32 v6, v6, v8, v7
.LBB3_21:
	v_mov_b32_e32 v8, v6
	v_mov_b32_e32 v7, v5
.LBB3_22:
	s_load_dwordx2 s[0:1], s[4:5], 0x50
	v_and_b32_e32 v0, 1, v0
	v_mov_b32_e32 v12, 0
	s_mov_b32 s2, exec_lo
	v_cmpx_gt_i32_e64 s10, v0
	s_cbranch_execz .LBB3_26
; %bb.23:
	s_clause 0x1
	s_load_dwordx2 s[14:15], s[4:5], 0x38
	s_load_dwordx2 s[4:5], s[4:5], 0x28
	s_xor_b32 s3, s13, s11
	v_lshlrev_b64 v[7:8], 1, v[7:8]
	s_and_b32 s3, s3, exec_lo
	v_lshlrev_b64 v[13:14], 1, v[3:4]
	s_cselect_b32 s6, 1, s6
	s_xor_b32 s3, s12, s7
	v_mul_lo_u32 v3, s6, v0
	s_and_b32 s3, s3, exec_lo
	s_cselect_b32 s3, s8, 1
	v_mov_b32_e32 v12, 0
	v_mul_lo_u32 v5, s3, v0
	v_mov_b32_e32 v15, v0
	s_lshl_b32 s3, s3, 1
	s_waitcnt lgkmcnt(0)
	v_add_co_u32 v7, vcc_lo, s14, v7
	v_add_co_ci_u32_e64 v8, null, s15, v8, vcc_lo
	v_add_co_u32 v13, vcc_lo, s4, v13
	v_add_co_ci_u32_e64 v14, null, s5, v14, vcc_lo
	s_lshl_b32 s5, s6, 1
	s_mov_b32 s4, 0
	.p2align	6
.LBB3_24:                               ; =>This Inner Loop Header: Depth=1
	v_ashrrev_i32_e32 v4, 31, v3
	v_ashrrev_i32_e32 v6, 31, v5
	v_add_nc_u32_e32 v15, 2, v15
	v_lshlrev_b64 v[16:17], 1, v[3:4]
	v_lshlrev_b64 v[18:19], 1, v[5:6]
	v_add_nc_u32_e32 v5, s3, v5
	v_add_nc_u32_e32 v3, s5, v3
	v_add_co_u32 v16, vcc_lo, v13, v16
	v_add_co_ci_u32_e64 v17, null, v14, v17, vcc_lo
	v_add_co_u32 v18, vcc_lo, v7, v18
	v_add_co_ci_u32_e64 v19, null, v8, v19, vcc_lo
	global_load_ushort v4, v[16:17], off
	global_load_ushort v6, v[18:19], off
	v_cmp_le_i32_e32 vcc_lo, s10, v15
	s_or_b32 s4, vcc_lo, s4
	s_waitcnt vmcnt(0)
	v_fmac_f16_e32 v12, v4, v6
	s_andn2_b32 exec_lo, exec_lo, s4
	s_cbranch_execnz .LBB3_24
; %bb.25:
	s_or_b32 exec_lo, exec_lo, s4
.LBB3_26:
	s_or_b32 exec_lo, exec_lo, s2
	v_lshlrev_b32_e32 v3, 2, v11
	v_cmp_eq_u32_e32 vcc_lo, 0, v0
	v_lshl_or_b32 v4, v0, 1, v3
	ds_write_b16 v4, v12
	s_waitcnt lgkmcnt(0)
	s_barrier
	buffer_gl0_inv
	s_and_saveexec_b32 s2, vcc_lo
	s_cbranch_execz .LBB3_28
; %bb.27:
	ds_read_u16 v0, v3 offset:2
	ds_read_u16 v5, v4
	s_waitcnt lgkmcnt(0)
	v_add_f16_e32 v0, v0, v5
	ds_write_b16 v4, v0
.LBB3_28:
	s_or_b32 exec_lo, exec_lo, s2
	s_waitcnt lgkmcnt(0)
	s_barrier
	buffer_gl0_inv
	s_and_b32 exec_lo, exec_lo, vcc_lo
	s_cbranch_execz .LBB3_30
; %bb.29:
	v_lshlrev_b64 v[0:1], 1, v[1:2]
	ds_read_u16 v3, v3
	v_add_co_u32 v0, vcc_lo, s0, v0
	v_add_co_ci_u32_e64 v1, null, s1, v1, vcc_lo
	global_load_ushort v2, v[0:1], off
	s_waitcnt lgkmcnt(0)
	v_mul_f16_e32 v3, v9, v3
	s_waitcnt vmcnt(0)
	v_fmac_f16_e32 v3, v10, v2
	global_store_short v[0:1], v3, off
.LBB3_30:
	s_endpgm
	.section	.rodata,"a",@progbits
	.p2align	6, 0x0
	.amdhsa_kernel _ZN9rocsparseL17sddmm_coox_kernelILi512ELi2ELb0EDF16_iiDF16_DF16_DF16_EEv20rocsparse_operation_S1_16rocsparse_order_S2_T4_S3_S3_T3_NS_24const_host_device_scalarIT2_EEPKT5_lPKT6_lS7_PT7_PKS4_SH_21rocsparse_index_base_b
		.amdhsa_group_segment_fixed_size 1024
		.amdhsa_private_segment_fixed_size 0
		.amdhsa_kernarg_size 112
		.amdhsa_user_sgpr_count 6
		.amdhsa_user_sgpr_private_segment_buffer 1
		.amdhsa_user_sgpr_dispatch_ptr 0
		.amdhsa_user_sgpr_queue_ptr 0
		.amdhsa_user_sgpr_kernarg_segment_ptr 1
		.amdhsa_user_sgpr_dispatch_id 0
		.amdhsa_user_sgpr_flat_scratch_init 0
		.amdhsa_user_sgpr_private_segment_size 0
		.amdhsa_wavefront_size32 1
		.amdhsa_uses_dynamic_stack 0
		.amdhsa_system_sgpr_private_segment_wavefront_offset 0
		.amdhsa_system_sgpr_workgroup_id_x 1
		.amdhsa_system_sgpr_workgroup_id_y 0
		.amdhsa_system_sgpr_workgroup_id_z 0
		.amdhsa_system_sgpr_workgroup_info 0
		.amdhsa_system_vgpr_workitem_id 0
		.amdhsa_next_free_vgpr 20
		.amdhsa_next_free_sgpr 16
		.amdhsa_reserve_vcc 1
		.amdhsa_reserve_flat_scratch 0
		.amdhsa_float_round_mode_32 0
		.amdhsa_float_round_mode_16_64 0
		.amdhsa_float_denorm_mode_32 3
		.amdhsa_float_denorm_mode_16_64 3
		.amdhsa_dx10_clamp 1
		.amdhsa_ieee_mode 1
		.amdhsa_fp16_overflow 0
		.amdhsa_workgroup_processor_mode 1
		.amdhsa_memory_ordered 1
		.amdhsa_forward_progress 1
		.amdhsa_shared_vgpr_count 0
		.amdhsa_exception_fp_ieee_invalid_op 0
		.amdhsa_exception_fp_denorm_src 0
		.amdhsa_exception_fp_ieee_div_zero 0
		.amdhsa_exception_fp_ieee_overflow 0
		.amdhsa_exception_fp_ieee_underflow 0
		.amdhsa_exception_fp_ieee_inexact 0
		.amdhsa_exception_int_div_zero 0
	.end_amdhsa_kernel
	.section	.text._ZN9rocsparseL17sddmm_coox_kernelILi512ELi2ELb0EDF16_iiDF16_DF16_DF16_EEv20rocsparse_operation_S1_16rocsparse_order_S2_T4_S3_S3_T3_NS_24const_host_device_scalarIT2_EEPKT5_lPKT6_lS7_PT7_PKS4_SH_21rocsparse_index_base_b,"axG",@progbits,_ZN9rocsparseL17sddmm_coox_kernelILi512ELi2ELb0EDF16_iiDF16_DF16_DF16_EEv20rocsparse_operation_S1_16rocsparse_order_S2_T4_S3_S3_T3_NS_24const_host_device_scalarIT2_EEPKT5_lPKT6_lS7_PT7_PKS4_SH_21rocsparse_index_base_b,comdat
.Lfunc_end3:
	.size	_ZN9rocsparseL17sddmm_coox_kernelILi512ELi2ELb0EDF16_iiDF16_DF16_DF16_EEv20rocsparse_operation_S1_16rocsparse_order_S2_T4_S3_S3_T3_NS_24const_host_device_scalarIT2_EEPKT5_lPKT6_lS7_PT7_PKS4_SH_21rocsparse_index_base_b, .Lfunc_end3-_ZN9rocsparseL17sddmm_coox_kernelILi512ELi2ELb0EDF16_iiDF16_DF16_DF16_EEv20rocsparse_operation_S1_16rocsparse_order_S2_T4_S3_S3_T3_NS_24const_host_device_scalarIT2_EEPKT5_lPKT6_lS7_PT7_PKS4_SH_21rocsparse_index_base_b
                                        ; -- End function
	.set _ZN9rocsparseL17sddmm_coox_kernelILi512ELi2ELb0EDF16_iiDF16_DF16_DF16_EEv20rocsparse_operation_S1_16rocsparse_order_S2_T4_S3_S3_T3_NS_24const_host_device_scalarIT2_EEPKT5_lPKT6_lS7_PT7_PKS4_SH_21rocsparse_index_base_b.num_vgpr, 20
	.set _ZN9rocsparseL17sddmm_coox_kernelILi512ELi2ELb0EDF16_iiDF16_DF16_DF16_EEv20rocsparse_operation_S1_16rocsparse_order_S2_T4_S3_S3_T3_NS_24const_host_device_scalarIT2_EEPKT5_lPKT6_lS7_PT7_PKS4_SH_21rocsparse_index_base_b.num_agpr, 0
	.set _ZN9rocsparseL17sddmm_coox_kernelILi512ELi2ELb0EDF16_iiDF16_DF16_DF16_EEv20rocsparse_operation_S1_16rocsparse_order_S2_T4_S3_S3_T3_NS_24const_host_device_scalarIT2_EEPKT5_lPKT6_lS7_PT7_PKS4_SH_21rocsparse_index_base_b.numbered_sgpr, 16
	.set _ZN9rocsparseL17sddmm_coox_kernelILi512ELi2ELb0EDF16_iiDF16_DF16_DF16_EEv20rocsparse_operation_S1_16rocsparse_order_S2_T4_S3_S3_T3_NS_24const_host_device_scalarIT2_EEPKT5_lPKT6_lS7_PT7_PKS4_SH_21rocsparse_index_base_b.num_named_barrier, 0
	.set _ZN9rocsparseL17sddmm_coox_kernelILi512ELi2ELb0EDF16_iiDF16_DF16_DF16_EEv20rocsparse_operation_S1_16rocsparse_order_S2_T4_S3_S3_T3_NS_24const_host_device_scalarIT2_EEPKT5_lPKT6_lS7_PT7_PKS4_SH_21rocsparse_index_base_b.private_seg_size, 0
	.set _ZN9rocsparseL17sddmm_coox_kernelILi512ELi2ELb0EDF16_iiDF16_DF16_DF16_EEv20rocsparse_operation_S1_16rocsparse_order_S2_T4_S3_S3_T3_NS_24const_host_device_scalarIT2_EEPKT5_lPKT6_lS7_PT7_PKS4_SH_21rocsparse_index_base_b.uses_vcc, 1
	.set _ZN9rocsparseL17sddmm_coox_kernelILi512ELi2ELb0EDF16_iiDF16_DF16_DF16_EEv20rocsparse_operation_S1_16rocsparse_order_S2_T4_S3_S3_T3_NS_24const_host_device_scalarIT2_EEPKT5_lPKT6_lS7_PT7_PKS4_SH_21rocsparse_index_base_b.uses_flat_scratch, 0
	.set _ZN9rocsparseL17sddmm_coox_kernelILi512ELi2ELb0EDF16_iiDF16_DF16_DF16_EEv20rocsparse_operation_S1_16rocsparse_order_S2_T4_S3_S3_T3_NS_24const_host_device_scalarIT2_EEPKT5_lPKT6_lS7_PT7_PKS4_SH_21rocsparse_index_base_b.has_dyn_sized_stack, 0
	.set _ZN9rocsparseL17sddmm_coox_kernelILi512ELi2ELb0EDF16_iiDF16_DF16_DF16_EEv20rocsparse_operation_S1_16rocsparse_order_S2_T4_S3_S3_T3_NS_24const_host_device_scalarIT2_EEPKT5_lPKT6_lS7_PT7_PKS4_SH_21rocsparse_index_base_b.has_recursion, 0
	.set _ZN9rocsparseL17sddmm_coox_kernelILi512ELi2ELb0EDF16_iiDF16_DF16_DF16_EEv20rocsparse_operation_S1_16rocsparse_order_S2_T4_S3_S3_T3_NS_24const_host_device_scalarIT2_EEPKT5_lPKT6_lS7_PT7_PKS4_SH_21rocsparse_index_base_b.has_indirect_call, 0
	.section	.AMDGPU.csdata,"",@progbits
; Kernel info:
; codeLenInByte = 1060
; TotalNumSgprs: 18
; NumVgprs: 20
; ScratchSize: 0
; MemoryBound: 0
; FloatMode: 240
; IeeeMode: 1
; LDSByteSize: 1024 bytes/workgroup (compile time only)
; SGPRBlocks: 0
; VGPRBlocks: 2
; NumSGPRsForWavesPerEU: 18
; NumVGPRsForWavesPerEU: 20
; Occupancy: 16
; WaveLimiterHint : 0
; COMPUTE_PGM_RSRC2:SCRATCH_EN: 0
; COMPUTE_PGM_RSRC2:USER_SGPR: 6
; COMPUTE_PGM_RSRC2:TRAP_HANDLER: 0
; COMPUTE_PGM_RSRC2:TGID_X_EN: 1
; COMPUTE_PGM_RSRC2:TGID_Y_EN: 0
; COMPUTE_PGM_RSRC2:TGID_Z_EN: 0
; COMPUTE_PGM_RSRC2:TIDIG_COMP_CNT: 0
	.section	.text._ZN9rocsparseL17sddmm_coox_kernelILi512ELi1ELb0EDF16_iiDF16_DF16_DF16_EEv20rocsparse_operation_S1_16rocsparse_order_S2_T4_S3_S3_T3_NS_24const_host_device_scalarIT2_EEPKT5_lPKT6_lS7_PT7_PKS4_SH_21rocsparse_index_base_b,"axG",@progbits,_ZN9rocsparseL17sddmm_coox_kernelILi512ELi1ELb0EDF16_iiDF16_DF16_DF16_EEv20rocsparse_operation_S1_16rocsparse_order_S2_T4_S3_S3_T3_NS_24const_host_device_scalarIT2_EEPKT5_lPKT6_lS7_PT7_PKS4_SH_21rocsparse_index_base_b,comdat
	.globl	_ZN9rocsparseL17sddmm_coox_kernelILi512ELi1ELb0EDF16_iiDF16_DF16_DF16_EEv20rocsparse_operation_S1_16rocsparse_order_S2_T4_S3_S3_T3_NS_24const_host_device_scalarIT2_EEPKT5_lPKT6_lS7_PT7_PKS4_SH_21rocsparse_index_base_b ; -- Begin function _ZN9rocsparseL17sddmm_coox_kernelILi512ELi1ELb0EDF16_iiDF16_DF16_DF16_EEv20rocsparse_operation_S1_16rocsparse_order_S2_T4_S3_S3_T3_NS_24const_host_device_scalarIT2_EEPKT5_lPKT6_lS7_PT7_PKS4_SH_21rocsparse_index_base_b
	.p2align	8
	.type	_ZN9rocsparseL17sddmm_coox_kernelILi512ELi1ELb0EDF16_iiDF16_DF16_DF16_EEv20rocsparse_operation_S1_16rocsparse_order_S2_T4_S3_S3_T3_NS_24const_host_device_scalarIT2_EEPKT5_lPKT6_lS7_PT7_PKS4_SH_21rocsparse_index_base_b,@function
_ZN9rocsparseL17sddmm_coox_kernelILi512ELi1ELb0EDF16_iiDF16_DF16_DF16_EEv20rocsparse_operation_S1_16rocsparse_order_S2_T4_S3_S3_T3_NS_24const_host_device_scalarIT2_EEPKT5_lPKT6_lS7_PT7_PKS4_SH_21rocsparse_index_base_b: ; @_ZN9rocsparseL17sddmm_coox_kernelILi512ELi1ELb0EDF16_iiDF16_DF16_DF16_EEv20rocsparse_operation_S1_16rocsparse_order_S2_T4_S3_S3_T3_NS_24const_host_device_scalarIT2_EEPKT5_lPKT6_lS7_PT7_PKS4_SH_21rocsparse_index_base_b
; %bb.0:
	s_clause 0x2
	s_load_dwordx2 s[12:13], s[4:5], 0x68
	s_load_dwordx2 s[0:1], s[4:5], 0x20
	s_load_dwordx4 s[8:11], s[4:5], 0x40
	s_waitcnt lgkmcnt(0)
	s_bitcmp1_b32 s13, 0
	v_mov_b32_e32 v9, s0
	s_cselect_b32 s2, -1, 0
	s_and_b32 vcc_lo, exec_lo, s2
	s_xor_b32 s2, s2, -1
	s_cbranch_vccnz .LBB4_2
; %bb.1:
	v_mov_b32_e32 v1, 0
	global_load_ushort v9, v1, s[0:1]
.LBB4_2:
	v_mov_b32_e32 v10, s10
	s_andn2_b32 vcc_lo, exec_lo, s2
	s_cbranch_vccnz .LBB4_4
; %bb.3:
	v_mov_b32_e32 v1, 0
	global_load_ushort v10, v1, s[10:11]
.LBB4_4:
	s_waitcnt vmcnt(0)
	v_cmp_eq_f16_e32 vcc_lo, 0, v9
	v_cmp_eq_f16_e64 s0, 1.0, v10
	s_and_b32 s0, vcc_lo, s0
	s_and_b32 vcc_lo, exec_lo, s0
	s_cbranch_vccnz .LBB4_27
; %bb.5:
	s_load_dwordx2 s[10:11], s[4:5], 0x18
	v_lshl_or_b32 v1, s6, 9, v0
	s_mov_b32 s0, exec_lo
	s_waitcnt lgkmcnt(0)
	v_cmpx_gt_i32_e64 s11, v1
	s_cbranch_execz .LBB4_27
; %bb.6:
	s_load_dwordx4 s[0:3], s[4:5], 0x58
	v_ashrrev_i32_e32 v2, 31, v1
	v_lshlrev_b64 v[3:4], 2, v[1:2]
	s_waitcnt lgkmcnt(0)
	v_add_co_u32 v5, vcc_lo, s0, v3
	v_add_co_ci_u32_e64 v6, null, s1, v4, vcc_lo
	v_add_co_u32 v3, vcc_lo, s2, v3
	v_add_co_ci_u32_e64 v4, null, s3, v4, vcc_lo
	global_load_dword v5, v[5:6], off
	global_load_dword v7, v[3:4], off
	s_clause 0x1
	s_load_dwordx4 s[0:3], s[4:5], 0x0
	s_load_dwordx2 s[6:7], s[4:5], 0x30
	s_waitcnt lgkmcnt(0)
	s_cmp_eq_u32 s2, 1
	s_cselect_b32 s11, -1, 0
	s_cmpk_eq_i32 s0, 0x6f
	s_cselect_b32 s13, -1, 0
	s_cmpk_lg_i32 s0, 0x6f
	s_cselect_b32 s0, -1, 0
	s_cmp_lg_u32 s2, 1
	s_waitcnt vmcnt(1)
	v_subrev_nc_u32_e32 v5, s12, v5
	v_ashrrev_i32_e32 v6, 31, v5
	s_cbranch_scc0 .LBB4_10
; %bb.7:
	v_mov_b32_e32 v3, v5
	v_mov_b32_e32 v4, v6
	s_andn2_b32 vcc_lo, exec_lo, s13
	s_cbranch_vccnz .LBB4_9
; %bb.8:
	v_mul_lo_u32 v8, s7, v5
	v_mul_lo_u32 v11, s6, v6
	v_mad_u64_u32 v[3:4], null, s6, v5, 0
	v_add3_u32 v4, v4, v11, v8
.LBB4_9:
	s_cbranch_execz .LBB4_11
	s_branch .LBB4_14
.LBB4_10:
                                        ; implicit-def: $vgpr3_vgpr4
.LBB4_11:
	s_andn2_b32 vcc_lo, exec_lo, s0
	s_cbranch_vccnz .LBB4_13
; %bb.12:
	v_mul_lo_u32 v3, s7, v5
	v_mul_lo_u32 v4, s6, v6
	v_mad_u64_u32 v[5:6], null, s6, v5, 0
	v_add3_u32 v6, v6, v4, v3
.LBB4_13:
	v_mov_b32_e32 v3, v5
	v_mov_b32_e32 v4, v6
.LBB4_14:
	s_waitcnt vmcnt(0)
	v_subrev_nc_u32_e32 v5, s12, v7
	s_cmp_eq_u32 s3, 1
	s_cselect_b32 s2, -1, 0
	s_cmpk_eq_i32 s1, 0x6f
	v_ashrrev_i32_e32 v6, 31, v5
	s_cselect_b32 s7, -1, 0
	s_cmpk_lg_i32 s1, 0x6f
	s_cselect_b32 s0, -1, 0
	s_cmp_lg_u32 s3, 1
	s_cbranch_scc0 .LBB4_21
; %bb.15:
	v_mov_b32_e32 v8, v6
	v_mov_b32_e32 v7, v5
	s_andn2_b32 vcc_lo, exec_lo, s0
	s_cbranch_vccnz .LBB4_17
; %bb.16:
	v_mul_lo_u32 v11, s9, v5
	v_mul_lo_u32 v12, s8, v6
	v_mad_u64_u32 v[7:8], null, s8, v5, 0
	v_add3_u32 v8, v8, v12, v11
.LBB4_17:
	s_cbranch_execz .LBB4_22
; %bb.18:
	s_load_dwordx2 s[0:1], s[4:5], 0x50
	s_cmp_lt_i32 s10, 1
	s_cbranch_scc1 .LBB4_25
.LBB4_19:
	s_clause 0x1
	s_load_dwordx2 s[14:15], s[4:5], 0x38
	s_load_dwordx2 s[4:5], s[4:5], 0x28
	v_lshlrev_b64 v[5:6], 1, v[7:8]
	v_lshlrev_b64 v[7:8], 1, v[3:4]
	s_xor_b32 s3, s13, s11
	s_and_b32 s3, s3, exec_lo
	s_cselect_b32 s6, 1, s6
	s_xor_b32 s2, s7, s2
	s_and_b32 s2, s2, exec_lo
	s_cselect_b32 s2, s8, 1
	s_ashr_i32 s7, s6, 31
	s_ashr_i32 s3, s2, 31
	s_lshl_b64 s[2:3], s[2:3], 1
	s_waitcnt lgkmcnt(0)
	v_add_co_u32 v3, vcc_lo, s14, v5
	v_add_co_ci_u32_e64 v4, null, s15, v6, vcc_lo
	v_add_co_u32 v5, vcc_lo, s4, v7
	v_add_co_ci_u32_e64 v6, null, s5, v8, vcc_lo
	v_mov_b32_e32 v7, 0
	s_lshl_b64 s[4:5], s[6:7], 1
	.p2align	6
.LBB4_20:                               ; =>This Inner Loop Header: Depth=1
	global_load_ushort v8, v[5:6], off
	global_load_ushort v11, v[3:4], off
	v_add_co_u32 v3, vcc_lo, v3, s2
	v_add_co_ci_u32_e64 v4, null, s3, v4, vcc_lo
	v_add_co_u32 v5, vcc_lo, v5, s4
	v_add_co_ci_u32_e64 v6, null, s5, v6, vcc_lo
	s_add_i32 s10, s10, -1
	s_cmp_eq_u32 s10, 0
	s_waitcnt vmcnt(0)
	v_fmac_f16_e32 v7, v8, v11
	s_cbranch_scc0 .LBB4_20
	s_branch .LBB4_26
.LBB4_21:
                                        ; implicit-def: $vgpr7_vgpr8
.LBB4_22:
	s_andn2_b32 vcc_lo, exec_lo, s7
	s_cbranch_vccnz .LBB4_24
; %bb.23:
	v_mul_lo_u32 v7, s9, v5
	v_mul_lo_u32 v8, s8, v6
	v_mad_u64_u32 v[5:6], null, s8, v5, 0
	v_add3_u32 v6, v6, v8, v7
.LBB4_24:
	v_mov_b32_e32 v8, v6
	v_mov_b32_e32 v7, v5
	s_load_dwordx2 s[0:1], s[4:5], 0x50
	s_cmp_lt_i32 s10, 1
	s_cbranch_scc0 .LBB4_19
.LBB4_25:
	v_mov_b32_e32 v7, 0
.LBB4_26:
	v_lshlrev_b64 v[1:2], 1, v[1:2]
	v_lshlrev_b32_e32 v3, 1, v0
	ds_write_b16 v3, v7
	s_waitcnt lgkmcnt(0)
	v_add_co_u32 v0, vcc_lo, s0, v1
	v_add_co_ci_u32_e64 v1, null, s1, v2, vcc_lo
	s_barrier
	buffer_gl0_inv
	global_load_ushort v2, v[0:1], off
	ds_read_u16 v3, v3
	s_waitcnt lgkmcnt(0)
	v_mul_f16_e32 v3, v9, v3
	s_waitcnt vmcnt(0)
	v_fmac_f16_e32 v3, v10, v2
	global_store_short v[0:1], v3, off
.LBB4_27:
	s_endpgm
	.section	.rodata,"a",@progbits
	.p2align	6, 0x0
	.amdhsa_kernel _ZN9rocsparseL17sddmm_coox_kernelILi512ELi1ELb0EDF16_iiDF16_DF16_DF16_EEv20rocsparse_operation_S1_16rocsparse_order_S2_T4_S3_S3_T3_NS_24const_host_device_scalarIT2_EEPKT5_lPKT6_lS7_PT7_PKS4_SH_21rocsparse_index_base_b
		.amdhsa_group_segment_fixed_size 1024
		.amdhsa_private_segment_fixed_size 0
		.amdhsa_kernarg_size 112
		.amdhsa_user_sgpr_count 6
		.amdhsa_user_sgpr_private_segment_buffer 1
		.amdhsa_user_sgpr_dispatch_ptr 0
		.amdhsa_user_sgpr_queue_ptr 0
		.amdhsa_user_sgpr_kernarg_segment_ptr 1
		.amdhsa_user_sgpr_dispatch_id 0
		.amdhsa_user_sgpr_flat_scratch_init 0
		.amdhsa_user_sgpr_private_segment_size 0
		.amdhsa_wavefront_size32 1
		.amdhsa_uses_dynamic_stack 0
		.amdhsa_system_sgpr_private_segment_wavefront_offset 0
		.amdhsa_system_sgpr_workgroup_id_x 1
		.amdhsa_system_sgpr_workgroup_id_y 0
		.amdhsa_system_sgpr_workgroup_id_z 0
		.amdhsa_system_sgpr_workgroup_info 0
		.amdhsa_system_vgpr_workitem_id 0
		.amdhsa_next_free_vgpr 13
		.amdhsa_next_free_sgpr 16
		.amdhsa_reserve_vcc 1
		.amdhsa_reserve_flat_scratch 0
		.amdhsa_float_round_mode_32 0
		.amdhsa_float_round_mode_16_64 0
		.amdhsa_float_denorm_mode_32 3
		.amdhsa_float_denorm_mode_16_64 3
		.amdhsa_dx10_clamp 1
		.amdhsa_ieee_mode 1
		.amdhsa_fp16_overflow 0
		.amdhsa_workgroup_processor_mode 1
		.amdhsa_memory_ordered 1
		.amdhsa_forward_progress 1
		.amdhsa_shared_vgpr_count 0
		.amdhsa_exception_fp_ieee_invalid_op 0
		.amdhsa_exception_fp_denorm_src 0
		.amdhsa_exception_fp_ieee_div_zero 0
		.amdhsa_exception_fp_ieee_overflow 0
		.amdhsa_exception_fp_ieee_underflow 0
		.amdhsa_exception_fp_ieee_inexact 0
		.amdhsa_exception_int_div_zero 0
	.end_amdhsa_kernel
	.section	.text._ZN9rocsparseL17sddmm_coox_kernelILi512ELi1ELb0EDF16_iiDF16_DF16_DF16_EEv20rocsparse_operation_S1_16rocsparse_order_S2_T4_S3_S3_T3_NS_24const_host_device_scalarIT2_EEPKT5_lPKT6_lS7_PT7_PKS4_SH_21rocsparse_index_base_b,"axG",@progbits,_ZN9rocsparseL17sddmm_coox_kernelILi512ELi1ELb0EDF16_iiDF16_DF16_DF16_EEv20rocsparse_operation_S1_16rocsparse_order_S2_T4_S3_S3_T3_NS_24const_host_device_scalarIT2_EEPKT5_lPKT6_lS7_PT7_PKS4_SH_21rocsparse_index_base_b,comdat
.Lfunc_end4:
	.size	_ZN9rocsparseL17sddmm_coox_kernelILi512ELi1ELb0EDF16_iiDF16_DF16_DF16_EEv20rocsparse_operation_S1_16rocsparse_order_S2_T4_S3_S3_T3_NS_24const_host_device_scalarIT2_EEPKT5_lPKT6_lS7_PT7_PKS4_SH_21rocsparse_index_base_b, .Lfunc_end4-_ZN9rocsparseL17sddmm_coox_kernelILi512ELi1ELb0EDF16_iiDF16_DF16_DF16_EEv20rocsparse_operation_S1_16rocsparse_order_S2_T4_S3_S3_T3_NS_24const_host_device_scalarIT2_EEPKT5_lPKT6_lS7_PT7_PKS4_SH_21rocsparse_index_base_b
                                        ; -- End function
	.set _ZN9rocsparseL17sddmm_coox_kernelILi512ELi1ELb0EDF16_iiDF16_DF16_DF16_EEv20rocsparse_operation_S1_16rocsparse_order_S2_T4_S3_S3_T3_NS_24const_host_device_scalarIT2_EEPKT5_lPKT6_lS7_PT7_PKS4_SH_21rocsparse_index_base_b.num_vgpr, 13
	.set _ZN9rocsparseL17sddmm_coox_kernelILi512ELi1ELb0EDF16_iiDF16_DF16_DF16_EEv20rocsparse_operation_S1_16rocsparse_order_S2_T4_S3_S3_T3_NS_24const_host_device_scalarIT2_EEPKT5_lPKT6_lS7_PT7_PKS4_SH_21rocsparse_index_base_b.num_agpr, 0
	.set _ZN9rocsparseL17sddmm_coox_kernelILi512ELi1ELb0EDF16_iiDF16_DF16_DF16_EEv20rocsparse_operation_S1_16rocsparse_order_S2_T4_S3_S3_T3_NS_24const_host_device_scalarIT2_EEPKT5_lPKT6_lS7_PT7_PKS4_SH_21rocsparse_index_base_b.numbered_sgpr, 16
	.set _ZN9rocsparseL17sddmm_coox_kernelILi512ELi1ELb0EDF16_iiDF16_DF16_DF16_EEv20rocsparse_operation_S1_16rocsparse_order_S2_T4_S3_S3_T3_NS_24const_host_device_scalarIT2_EEPKT5_lPKT6_lS7_PT7_PKS4_SH_21rocsparse_index_base_b.num_named_barrier, 0
	.set _ZN9rocsparseL17sddmm_coox_kernelILi512ELi1ELb0EDF16_iiDF16_DF16_DF16_EEv20rocsparse_operation_S1_16rocsparse_order_S2_T4_S3_S3_T3_NS_24const_host_device_scalarIT2_EEPKT5_lPKT6_lS7_PT7_PKS4_SH_21rocsparse_index_base_b.private_seg_size, 0
	.set _ZN9rocsparseL17sddmm_coox_kernelILi512ELi1ELb0EDF16_iiDF16_DF16_DF16_EEv20rocsparse_operation_S1_16rocsparse_order_S2_T4_S3_S3_T3_NS_24const_host_device_scalarIT2_EEPKT5_lPKT6_lS7_PT7_PKS4_SH_21rocsparse_index_base_b.uses_vcc, 1
	.set _ZN9rocsparseL17sddmm_coox_kernelILi512ELi1ELb0EDF16_iiDF16_DF16_DF16_EEv20rocsparse_operation_S1_16rocsparse_order_S2_T4_S3_S3_T3_NS_24const_host_device_scalarIT2_EEPKT5_lPKT6_lS7_PT7_PKS4_SH_21rocsparse_index_base_b.uses_flat_scratch, 0
	.set _ZN9rocsparseL17sddmm_coox_kernelILi512ELi1ELb0EDF16_iiDF16_DF16_DF16_EEv20rocsparse_operation_S1_16rocsparse_order_S2_T4_S3_S3_T3_NS_24const_host_device_scalarIT2_EEPKT5_lPKT6_lS7_PT7_PKS4_SH_21rocsparse_index_base_b.has_dyn_sized_stack, 0
	.set _ZN9rocsparseL17sddmm_coox_kernelILi512ELi1ELb0EDF16_iiDF16_DF16_DF16_EEv20rocsparse_operation_S1_16rocsparse_order_S2_T4_S3_S3_T3_NS_24const_host_device_scalarIT2_EEPKT5_lPKT6_lS7_PT7_PKS4_SH_21rocsparse_index_base_b.has_recursion, 0
	.set _ZN9rocsparseL17sddmm_coox_kernelILi512ELi1ELb0EDF16_iiDF16_DF16_DF16_EEv20rocsparse_operation_S1_16rocsparse_order_S2_T4_S3_S3_T3_NS_24const_host_device_scalarIT2_EEPKT5_lPKT6_lS7_PT7_PKS4_SH_21rocsparse_index_base_b.has_indirect_call, 0
	.section	.AMDGPU.csdata,"",@progbits
; Kernel info:
; codeLenInByte = 876
; TotalNumSgprs: 18
; NumVgprs: 13
; ScratchSize: 0
; MemoryBound: 0
; FloatMode: 240
; IeeeMode: 1
; LDSByteSize: 1024 bytes/workgroup (compile time only)
; SGPRBlocks: 0
; VGPRBlocks: 1
; NumSGPRsForWavesPerEU: 18
; NumVGPRsForWavesPerEU: 13
; Occupancy: 16
; WaveLimiterHint : 0
; COMPUTE_PGM_RSRC2:SCRATCH_EN: 0
; COMPUTE_PGM_RSRC2:USER_SGPR: 6
; COMPUTE_PGM_RSRC2:TRAP_HANDLER: 0
; COMPUTE_PGM_RSRC2:TGID_X_EN: 1
; COMPUTE_PGM_RSRC2:TGID_Y_EN: 0
; COMPUTE_PGM_RSRC2:TGID_Z_EN: 0
; COMPUTE_PGM_RSRC2:TIDIG_COMP_CNT: 0
	.section	.text._ZN9rocsparseL24sddmm_coox_sample_kernelILi512ELb0EfiifEEvT3_S1_T2_PKT4_S1_PS3_PKS2_S8_21rocsparse_index_base_,"axG",@progbits,_ZN9rocsparseL24sddmm_coox_sample_kernelILi512ELb0EfiifEEvT3_S1_T2_PKT4_S1_PS3_PKS2_S8_21rocsparse_index_base_,comdat
	.globl	_ZN9rocsparseL24sddmm_coox_sample_kernelILi512ELb0EfiifEEvT3_S1_T2_PKT4_S1_PS3_PKS2_S8_21rocsparse_index_base_ ; -- Begin function _ZN9rocsparseL24sddmm_coox_sample_kernelILi512ELb0EfiifEEvT3_S1_T2_PKT4_S1_PS3_PKS2_S8_21rocsparse_index_base_
	.p2align	8
	.type	_ZN9rocsparseL24sddmm_coox_sample_kernelILi512ELb0EfiifEEvT3_S1_T2_PKT4_S1_PS3_PKS2_S8_21rocsparse_index_base_,@function
_ZN9rocsparseL24sddmm_coox_sample_kernelILi512ELb0EfiifEEvT3_S1_T2_PKT4_S1_PS3_PKS2_S8_21rocsparse_index_base_: ; @_ZN9rocsparseL24sddmm_coox_sample_kernelILi512ELb0EfiifEEvT3_S1_T2_PKT4_S1_PS3_PKS2_S8_21rocsparse_index_base_
; %bb.0:
	s_load_dword s1, s[4:5], 0x8
	v_lshl_or_b32 v0, s6, 9, v0
	s_mov_b32 s0, exec_lo
	s_waitcnt lgkmcnt(0)
	v_cmpx_gt_u32_e64 s1, v0
	s_cbranch_execz .LBB5_3
; %bb.1:
	s_clause 0x5
	s_load_dword s12, s[4:5], 0x38
	s_load_dword s0, s[4:5], 0x40
	s_load_dwordx4 s[8:11], s[4:5], 0x20
	s_load_dwordx2 s[2:3], s[4:5], 0x30
	s_load_dwordx2 s[6:7], s[4:5], 0x10
	s_load_dword s4, s[4:5], 0x18
	v_mov_b32_e32 v1, 0
	s_mov_b32 s13, 0
	s_waitcnt lgkmcnt(0)
	s_lshl_b32 s5, s0, 9
	s_inst_prefetch 0x1
	.p2align	6
.LBB5_2:                                ; =>This Inner Loop Header: Depth=1
	v_lshlrev_b64 v[2:3], 2, v[0:1]
	v_add_nc_u32_e32 v0, s5, v0
	v_add_co_u32 v4, vcc_lo, s10, v2
	v_add_co_ci_u32_e64 v5, null, s11, v3, vcc_lo
	v_add_co_u32 v6, vcc_lo, s2, v2
	v_add_co_ci_u32_e64 v7, null, s3, v3, vcc_lo
	global_load_dword v4, v[4:5], off
	global_load_dword v5, v[6:7], off
	v_add_co_u32 v2, s0, s8, v2
	v_add_co_ci_u32_e64 v3, null, s9, v3, s0
	s_waitcnt vmcnt(1)
	v_subrev_nc_u32_e32 v4, s12, v4
	s_waitcnt vmcnt(0)
	v_subrev_nc_u32_e32 v5, s12, v5
	v_mad_u64_u32 v[4:5], null, v5, s4, v[4:5]
	v_ashrrev_i32_e32 v5, 31, v4
	v_lshlrev_b64 v[4:5], 2, v[4:5]
	v_add_co_u32 v4, vcc_lo, s6, v4
	v_add_co_ci_u32_e64 v5, null, s7, v5, vcc_lo
	v_cmp_le_u32_e32 vcc_lo, s1, v0
	global_load_dword v4, v[4:5], off
	s_or_b32 s13, vcc_lo, s13
	s_waitcnt vmcnt(0)
	global_store_dword v[2:3], v4, off
	s_andn2_b32 exec_lo, exec_lo, s13
	s_cbranch_execnz .LBB5_2
.LBB5_3:
	s_inst_prefetch 0x2
	s_endpgm
	.section	.rodata,"a",@progbits
	.p2align	6, 0x0
	.amdhsa_kernel _ZN9rocsparseL24sddmm_coox_sample_kernelILi512ELb0EfiifEEvT3_S1_T2_PKT4_S1_PS3_PKS2_S8_21rocsparse_index_base_
		.amdhsa_group_segment_fixed_size 0
		.amdhsa_private_segment_fixed_size 0
		.amdhsa_kernarg_size 320
		.amdhsa_user_sgpr_count 6
		.amdhsa_user_sgpr_private_segment_buffer 1
		.amdhsa_user_sgpr_dispatch_ptr 0
		.amdhsa_user_sgpr_queue_ptr 0
		.amdhsa_user_sgpr_kernarg_segment_ptr 1
		.amdhsa_user_sgpr_dispatch_id 0
		.amdhsa_user_sgpr_flat_scratch_init 0
		.amdhsa_user_sgpr_private_segment_size 0
		.amdhsa_wavefront_size32 1
		.amdhsa_uses_dynamic_stack 0
		.amdhsa_system_sgpr_private_segment_wavefront_offset 0
		.amdhsa_system_sgpr_workgroup_id_x 1
		.amdhsa_system_sgpr_workgroup_id_y 0
		.amdhsa_system_sgpr_workgroup_id_z 0
		.amdhsa_system_sgpr_workgroup_info 0
		.amdhsa_system_vgpr_workitem_id 0
		.amdhsa_next_free_vgpr 8
		.amdhsa_next_free_sgpr 14
		.amdhsa_reserve_vcc 1
		.amdhsa_reserve_flat_scratch 0
		.amdhsa_float_round_mode_32 0
		.amdhsa_float_round_mode_16_64 0
		.amdhsa_float_denorm_mode_32 3
		.amdhsa_float_denorm_mode_16_64 3
		.amdhsa_dx10_clamp 1
		.amdhsa_ieee_mode 1
		.amdhsa_fp16_overflow 0
		.amdhsa_workgroup_processor_mode 1
		.amdhsa_memory_ordered 1
		.amdhsa_forward_progress 1
		.amdhsa_shared_vgpr_count 0
		.amdhsa_exception_fp_ieee_invalid_op 0
		.amdhsa_exception_fp_denorm_src 0
		.amdhsa_exception_fp_ieee_div_zero 0
		.amdhsa_exception_fp_ieee_overflow 0
		.amdhsa_exception_fp_ieee_underflow 0
		.amdhsa_exception_fp_ieee_inexact 0
		.amdhsa_exception_int_div_zero 0
	.end_amdhsa_kernel
	.section	.text._ZN9rocsparseL24sddmm_coox_sample_kernelILi512ELb0EfiifEEvT3_S1_T2_PKT4_S1_PS3_PKS2_S8_21rocsparse_index_base_,"axG",@progbits,_ZN9rocsparseL24sddmm_coox_sample_kernelILi512ELb0EfiifEEvT3_S1_T2_PKT4_S1_PS3_PKS2_S8_21rocsparse_index_base_,comdat
.Lfunc_end5:
	.size	_ZN9rocsparseL24sddmm_coox_sample_kernelILi512ELb0EfiifEEvT3_S1_T2_PKT4_S1_PS3_PKS2_S8_21rocsparse_index_base_, .Lfunc_end5-_ZN9rocsparseL24sddmm_coox_sample_kernelILi512ELb0EfiifEEvT3_S1_T2_PKT4_S1_PS3_PKS2_S8_21rocsparse_index_base_
                                        ; -- End function
	.set _ZN9rocsparseL24sddmm_coox_sample_kernelILi512ELb0EfiifEEvT3_S1_T2_PKT4_S1_PS3_PKS2_S8_21rocsparse_index_base_.num_vgpr, 8
	.set _ZN9rocsparseL24sddmm_coox_sample_kernelILi512ELb0EfiifEEvT3_S1_T2_PKT4_S1_PS3_PKS2_S8_21rocsparse_index_base_.num_agpr, 0
	.set _ZN9rocsparseL24sddmm_coox_sample_kernelILi512ELb0EfiifEEvT3_S1_T2_PKT4_S1_PS3_PKS2_S8_21rocsparse_index_base_.numbered_sgpr, 14
	.set _ZN9rocsparseL24sddmm_coox_sample_kernelILi512ELb0EfiifEEvT3_S1_T2_PKT4_S1_PS3_PKS2_S8_21rocsparse_index_base_.num_named_barrier, 0
	.set _ZN9rocsparseL24sddmm_coox_sample_kernelILi512ELb0EfiifEEvT3_S1_T2_PKT4_S1_PS3_PKS2_S8_21rocsparse_index_base_.private_seg_size, 0
	.set _ZN9rocsparseL24sddmm_coox_sample_kernelILi512ELb0EfiifEEvT3_S1_T2_PKT4_S1_PS3_PKS2_S8_21rocsparse_index_base_.uses_vcc, 1
	.set _ZN9rocsparseL24sddmm_coox_sample_kernelILi512ELb0EfiifEEvT3_S1_T2_PKT4_S1_PS3_PKS2_S8_21rocsparse_index_base_.uses_flat_scratch, 0
	.set _ZN9rocsparseL24sddmm_coox_sample_kernelILi512ELb0EfiifEEvT3_S1_T2_PKT4_S1_PS3_PKS2_S8_21rocsparse_index_base_.has_dyn_sized_stack, 0
	.set _ZN9rocsparseL24sddmm_coox_sample_kernelILi512ELb0EfiifEEvT3_S1_T2_PKT4_S1_PS3_PKS2_S8_21rocsparse_index_base_.has_recursion, 0
	.set _ZN9rocsparseL24sddmm_coox_sample_kernelILi512ELb0EfiifEEvT3_S1_T2_PKT4_S1_PS3_PKS2_S8_21rocsparse_index_base_.has_indirect_call, 0
	.section	.AMDGPU.csdata,"",@progbits
; Kernel info:
; codeLenInByte = 300
; TotalNumSgprs: 16
; NumVgprs: 8
; ScratchSize: 0
; MemoryBound: 0
; FloatMode: 240
; IeeeMode: 1
; LDSByteSize: 0 bytes/workgroup (compile time only)
; SGPRBlocks: 0
; VGPRBlocks: 0
; NumSGPRsForWavesPerEU: 16
; NumVGPRsForWavesPerEU: 8
; Occupancy: 16
; WaveLimiterHint : 1
; COMPUTE_PGM_RSRC2:SCRATCH_EN: 0
; COMPUTE_PGM_RSRC2:USER_SGPR: 6
; COMPUTE_PGM_RSRC2:TRAP_HANDLER: 0
; COMPUTE_PGM_RSRC2:TGID_X_EN: 1
; COMPUTE_PGM_RSRC2:TGID_Y_EN: 0
; COMPUTE_PGM_RSRC2:TGID_Z_EN: 0
; COMPUTE_PGM_RSRC2:TIDIG_COMP_CNT: 0
	.section	.text._ZN9rocsparseL17sddmm_coox_kernelILi512ELi8ELb0EfiifffEEv20rocsparse_operation_S1_16rocsparse_order_S2_T4_S3_S3_T3_NS_24const_host_device_scalarIT2_EEPKT5_lPKT6_lS7_PT7_PKS4_SH_21rocsparse_index_base_b,"axG",@progbits,_ZN9rocsparseL17sddmm_coox_kernelILi512ELi8ELb0EfiifffEEv20rocsparse_operation_S1_16rocsparse_order_S2_T4_S3_S3_T3_NS_24const_host_device_scalarIT2_EEPKT5_lPKT6_lS7_PT7_PKS4_SH_21rocsparse_index_base_b,comdat
	.globl	_ZN9rocsparseL17sddmm_coox_kernelILi512ELi8ELb0EfiifffEEv20rocsparse_operation_S1_16rocsparse_order_S2_T4_S3_S3_T3_NS_24const_host_device_scalarIT2_EEPKT5_lPKT6_lS7_PT7_PKS4_SH_21rocsparse_index_base_b ; -- Begin function _ZN9rocsparseL17sddmm_coox_kernelILi512ELi8ELb0EfiifffEEv20rocsparse_operation_S1_16rocsparse_order_S2_T4_S3_S3_T3_NS_24const_host_device_scalarIT2_EEPKT5_lPKT6_lS7_PT7_PKS4_SH_21rocsparse_index_base_b
	.p2align	8
	.type	_ZN9rocsparseL17sddmm_coox_kernelILi512ELi8ELb0EfiifffEEv20rocsparse_operation_S1_16rocsparse_order_S2_T4_S3_S3_T3_NS_24const_host_device_scalarIT2_EEPKT5_lPKT6_lS7_PT7_PKS4_SH_21rocsparse_index_base_b,@function
_ZN9rocsparseL17sddmm_coox_kernelILi512ELi8ELb0EfiifffEEv20rocsparse_operation_S1_16rocsparse_order_S2_T4_S3_S3_T3_NS_24const_host_device_scalarIT2_EEPKT5_lPKT6_lS7_PT7_PKS4_SH_21rocsparse_index_base_b: ; @_ZN9rocsparseL17sddmm_coox_kernelILi512ELi8ELb0EfiifffEEv20rocsparse_operation_S1_16rocsparse_order_S2_T4_S3_S3_T3_NS_24const_host_device_scalarIT2_EEPKT5_lPKT6_lS7_PT7_PKS4_SH_21rocsparse_index_base_b
; %bb.0:
	s_clause 0x2
	s_load_dwordx2 s[18:19], s[4:5], 0x68
	s_load_dwordx2 s[12:13], s[4:5], 0x20
	s_load_dwordx4 s[0:3], s[4:5], 0x40
	s_waitcnt lgkmcnt(0)
	s_bitcmp1_b32 s19, 0
	s_cselect_b32 s7, -1, 0
	s_and_b32 vcc_lo, exec_lo, s7
	s_xor_b32 s7, s7, -1
	s_cbranch_vccnz .LBB6_2
; %bb.1:
	s_load_dword s12, s[12:13], 0x0
.LBB6_2:
	s_andn2_b32 vcc_lo, exec_lo, s7
	s_cbranch_vccnz .LBB6_4
; %bb.3:
	s_load_dword s2, s[2:3], 0x0
.LBB6_4:
	s_waitcnt lgkmcnt(0)
	v_cmp_eq_f32_e64 s3, s12, 0
	v_cmp_eq_f32_e64 s7, s2, 1.0
	s_and_b32 s3, s3, s7
	s_and_b32 vcc_lo, exec_lo, s3
	s_cbranch_vccnz .LBB6_34
; %bb.5:
	s_load_dwordx2 s[14:15], s[4:5], 0x18
	v_lshrrev_b32_e32 v9, 3, v0
	s_mov_b32 s3, exec_lo
	v_lshl_or_b32 v1, s6, 6, v9
	s_waitcnt lgkmcnt(0)
	v_cmpx_gt_i32_e64 s15, v1
	s_cbranch_execz .LBB6_34
; %bb.6:
	s_load_dwordx4 s[8:11], s[4:5], 0x58
	v_ashrrev_i32_e32 v2, 31, v1
	v_lshlrev_b64 v[1:2], 2, v[1:2]
	s_waitcnt lgkmcnt(0)
	v_add_co_u32 v3, vcc_lo, s8, v1
	v_add_co_ci_u32_e64 v4, null, s9, v2, vcc_lo
	global_load_dword v5, v[3:4], off
	v_add_co_u32 v3, vcc_lo, s10, v1
	v_add_co_ci_u32_e64 v4, null, s11, v2, vcc_lo
	global_load_dword v7, v[3:4], off
	s_clause 0x1
	s_load_dwordx4 s[8:11], s[4:5], 0x0
	s_load_dwordx2 s[16:17], s[4:5], 0x30
	s_waitcnt lgkmcnt(0)
	s_cmp_eq_u32 s10, 1
	s_cselect_b32 s3, -1, 0
	s_cmpk_eq_i32 s8, 0x6f
	s_cselect_b32 s13, -1, 0
	s_cmpk_lg_i32 s8, 0x6f
	s_cselect_b32 s6, -1, 0
	s_cmp_lg_u32 s10, 1
	s_waitcnt vmcnt(1)
	v_subrev_nc_u32_e32 v5, s18, v5
	v_ashrrev_i32_e32 v6, 31, v5
	s_cbranch_scc0 .LBB6_10
; %bb.7:
	v_mov_b32_e32 v3, v5
	v_mov_b32_e32 v4, v6
	s_andn2_b32 vcc_lo, exec_lo, s13
	s_cbranch_vccnz .LBB6_9
; %bb.8:
	v_mul_lo_u32 v8, s17, v5
	v_mul_lo_u32 v10, s16, v6
	v_mad_u64_u32 v[3:4], null, s16, v5, 0
	v_add3_u32 v4, v4, v10, v8
.LBB6_9:
	s_cbranch_execz .LBB6_11
	s_branch .LBB6_14
.LBB6_10:
                                        ; implicit-def: $vgpr3_vgpr4
.LBB6_11:
	s_andn2_b32 vcc_lo, exec_lo, s6
	s_cbranch_vccnz .LBB6_13
; %bb.12:
	v_mul_lo_u32 v3, s17, v5
	v_mul_lo_u32 v4, s16, v6
	v_mad_u64_u32 v[5:6], null, s16, v5, 0
	v_add3_u32 v6, v6, v4, v3
.LBB6_13:
	v_mov_b32_e32 v3, v5
	v_mov_b32_e32 v4, v6
.LBB6_14:
	s_waitcnt vmcnt(0)
	v_subrev_nc_u32_e32 v5, s18, v7
	s_cmp_eq_u32 s11, 1
	s_cselect_b32 s8, -1, 0
	s_cmpk_eq_i32 s9, 0x6f
	v_ashrrev_i32_e32 v6, 31, v5
	s_cselect_b32 s10, -1, 0
	s_cmpk_lg_i32 s9, 0x6f
	s_cselect_b32 s6, -1, 0
	s_cmp_lg_u32 s11, 1
	s_cbranch_scc0 .LBB6_18
; %bb.15:
	v_mov_b32_e32 v8, v6
	v_mov_b32_e32 v7, v5
	s_andn2_b32 vcc_lo, exec_lo, s6
	s_cbranch_vccnz .LBB6_17
; %bb.16:
	v_mul_lo_u32 v10, s1, v5
	v_mul_lo_u32 v11, s0, v6
	v_mad_u64_u32 v[7:8], null, s0, v5, 0
	v_add3_u32 v8, v8, v11, v10
.LBB6_17:
	s_cbranch_execz .LBB6_19
	s_branch .LBB6_22
.LBB6_18:
                                        ; implicit-def: $vgpr7_vgpr8
.LBB6_19:
	s_andn2_b32 vcc_lo, exec_lo, s10
	s_cbranch_vccnz .LBB6_21
; %bb.20:
	v_mul_lo_u32 v7, s1, v5
	v_mul_lo_u32 v8, s0, v6
	v_mad_u64_u32 v[5:6], null, s0, v5, 0
	v_add3_u32 v6, v6, v8, v7
.LBB6_21:
	v_mov_b32_e32 v8, v6
	v_mov_b32_e32 v7, v5
.LBB6_22:
	s_load_dwordx2 s[6:7], s[4:5], 0x50
	v_and_b32_e32 v0, 7, v0
	v_mov_b32_e32 v10, 0
	s_mov_b32 s1, exec_lo
	v_cmpx_gt_i32_e64 s14, v0
	s_cbranch_execz .LBB6_26
; %bb.23:
	s_clause 0x1
	s_load_dwordx2 s[18:19], s[4:5], 0x38
	s_load_dwordx2 s[4:5], s[4:5], 0x28
	s_xor_b32 s3, s13, s3
	v_lshlrev_b64 v[7:8], 2, v[7:8]
	s_and_b32 s3, s3, exec_lo
	v_lshlrev_b64 v[11:12], 2, v[3:4]
	s_cselect_b32 s3, 1, s16
	s_xor_b32 s8, s10, s8
	v_mul_lo_u32 v3, s3, v0
	s_and_b32 s8, s8, exec_lo
	s_cselect_b32 s0, s0, 1
	v_mov_b32_e32 v10, 0
	v_mul_lo_u32 v5, s0, v0
	v_mov_b32_e32 v13, v0
	s_lshl_b32 s0, s0, 3
	s_waitcnt lgkmcnt(0)
	v_add_co_u32 v7, vcc_lo, s18, v7
	v_add_co_ci_u32_e64 v8, null, s19, v8, vcc_lo
	v_add_co_u32 v11, vcc_lo, s4, v11
	v_add_co_ci_u32_e64 v12, null, s5, v12, vcc_lo
	s_lshl_b32 s4, s3, 3
	s_mov_b32 s3, 0
	.p2align	6
.LBB6_24:                               ; =>This Inner Loop Header: Depth=1
	v_ashrrev_i32_e32 v4, 31, v3
	v_ashrrev_i32_e32 v6, 31, v5
	v_add_nc_u32_e32 v13, 8, v13
	v_lshlrev_b64 v[14:15], 2, v[3:4]
	v_lshlrev_b64 v[16:17], 2, v[5:6]
	v_add_nc_u32_e32 v5, s0, v5
	v_add_nc_u32_e32 v3, s4, v3
	v_add_co_u32 v14, vcc_lo, v11, v14
	v_add_co_ci_u32_e64 v15, null, v12, v15, vcc_lo
	v_add_co_u32 v16, vcc_lo, v7, v16
	v_add_co_ci_u32_e64 v17, null, v8, v17, vcc_lo
	global_load_dword v4, v[14:15], off
	global_load_dword v6, v[16:17], off
	v_cmp_le_i32_e32 vcc_lo, s14, v13
	s_or_b32 s3, vcc_lo, s3
	s_waitcnt vmcnt(0)
	v_fmac_f32_e32 v10, v4, v6
	s_andn2_b32 exec_lo, exec_lo, s3
	s_cbranch_execnz .LBB6_24
; %bb.25:
	s_or_b32 exec_lo, exec_lo, s3
.LBB6_26:
	s_or_b32 exec_lo, exec_lo, s1
	v_lshlrev_b32_e32 v3, 5, v9
	s_mov_b32 s0, exec_lo
	v_lshl_or_b32 v4, v0, 2, v3
	ds_write_b32 v4, v10
	s_waitcnt lgkmcnt(0)
	s_barrier
	buffer_gl0_inv
	v_cmpx_gt_u32_e32 4, v0
	s_cbranch_execz .LBB6_28
; %bb.27:
	ds_read2_b32 v[5:6], v4 offset1:4
	s_waitcnt lgkmcnt(0)
	v_add_f32_e32 v5, v6, v5
	ds_write_b32 v4, v5
.LBB6_28:
	s_or_b32 exec_lo, exec_lo, s0
	s_mov_b32 s0, exec_lo
	s_waitcnt lgkmcnt(0)
	s_barrier
	buffer_gl0_inv
	v_cmpx_gt_u32_e32 2, v0
	s_cbranch_execz .LBB6_30
; %bb.29:
	ds_read2_b32 v[5:6], v4 offset1:2
	s_waitcnt lgkmcnt(0)
	v_add_f32_e32 v5, v6, v5
	ds_write_b32 v4, v5
.LBB6_30:
	s_or_b32 exec_lo, exec_lo, s0
	v_cmp_eq_u32_e32 vcc_lo, 0, v0
	s_waitcnt lgkmcnt(0)
	s_barrier
	buffer_gl0_inv
	s_and_saveexec_b32 s0, vcc_lo
	s_cbranch_execz .LBB6_32
; %bb.31:
	ds_read2_b32 v[5:6], v4 offset1:1
	s_waitcnt lgkmcnt(0)
	v_add_f32_e32 v0, v6, v5
	ds_write_b32 v4, v0
.LBB6_32:
	s_or_b32 exec_lo, exec_lo, s0
	s_waitcnt lgkmcnt(0)
	s_barrier
	buffer_gl0_inv
	s_and_b32 exec_lo, exec_lo, vcc_lo
	s_cbranch_execz .LBB6_34
; %bb.33:
	v_add_co_u32 v0, vcc_lo, s6, v1
	v_add_co_ci_u32_e64 v1, null, s7, v2, vcc_lo
	ds_read_b32 v3, v3
	global_load_dword v2, v[0:1], off
	s_waitcnt lgkmcnt(0)
	v_mul_f32_e32 v3, s12, v3
	s_waitcnt vmcnt(0)
	v_fmac_f32_e32 v3, s2, v2
	global_store_dword v[0:1], v3, off
.LBB6_34:
	s_endpgm
	.section	.rodata,"a",@progbits
	.p2align	6, 0x0
	.amdhsa_kernel _ZN9rocsparseL17sddmm_coox_kernelILi512ELi8ELb0EfiifffEEv20rocsparse_operation_S1_16rocsparse_order_S2_T4_S3_S3_T3_NS_24const_host_device_scalarIT2_EEPKT5_lPKT6_lS7_PT7_PKS4_SH_21rocsparse_index_base_b
		.amdhsa_group_segment_fixed_size 2048
		.amdhsa_private_segment_fixed_size 0
		.amdhsa_kernarg_size 112
		.amdhsa_user_sgpr_count 6
		.amdhsa_user_sgpr_private_segment_buffer 1
		.amdhsa_user_sgpr_dispatch_ptr 0
		.amdhsa_user_sgpr_queue_ptr 0
		.amdhsa_user_sgpr_kernarg_segment_ptr 1
		.amdhsa_user_sgpr_dispatch_id 0
		.amdhsa_user_sgpr_flat_scratch_init 0
		.amdhsa_user_sgpr_private_segment_size 0
		.amdhsa_wavefront_size32 1
		.amdhsa_uses_dynamic_stack 0
		.amdhsa_system_sgpr_private_segment_wavefront_offset 0
		.amdhsa_system_sgpr_workgroup_id_x 1
		.amdhsa_system_sgpr_workgroup_id_y 0
		.amdhsa_system_sgpr_workgroup_id_z 0
		.amdhsa_system_sgpr_workgroup_info 0
		.amdhsa_system_vgpr_workitem_id 0
		.amdhsa_next_free_vgpr 18
		.amdhsa_next_free_sgpr 20
		.amdhsa_reserve_vcc 1
		.amdhsa_reserve_flat_scratch 0
		.amdhsa_float_round_mode_32 0
		.amdhsa_float_round_mode_16_64 0
		.amdhsa_float_denorm_mode_32 3
		.amdhsa_float_denorm_mode_16_64 3
		.amdhsa_dx10_clamp 1
		.amdhsa_ieee_mode 1
		.amdhsa_fp16_overflow 0
		.amdhsa_workgroup_processor_mode 1
		.amdhsa_memory_ordered 1
		.amdhsa_forward_progress 1
		.amdhsa_shared_vgpr_count 0
		.amdhsa_exception_fp_ieee_invalid_op 0
		.amdhsa_exception_fp_denorm_src 0
		.amdhsa_exception_fp_ieee_div_zero 0
		.amdhsa_exception_fp_ieee_overflow 0
		.amdhsa_exception_fp_ieee_underflow 0
		.amdhsa_exception_fp_ieee_inexact 0
		.amdhsa_exception_int_div_zero 0
	.end_amdhsa_kernel
	.section	.text._ZN9rocsparseL17sddmm_coox_kernelILi512ELi8ELb0EfiifffEEv20rocsparse_operation_S1_16rocsparse_order_S2_T4_S3_S3_T3_NS_24const_host_device_scalarIT2_EEPKT5_lPKT6_lS7_PT7_PKS4_SH_21rocsparse_index_base_b,"axG",@progbits,_ZN9rocsparseL17sddmm_coox_kernelILi512ELi8ELb0EfiifffEEv20rocsparse_operation_S1_16rocsparse_order_S2_T4_S3_S3_T3_NS_24const_host_device_scalarIT2_EEPKT5_lPKT6_lS7_PT7_PKS4_SH_21rocsparse_index_base_b,comdat
.Lfunc_end6:
	.size	_ZN9rocsparseL17sddmm_coox_kernelILi512ELi8ELb0EfiifffEEv20rocsparse_operation_S1_16rocsparse_order_S2_T4_S3_S3_T3_NS_24const_host_device_scalarIT2_EEPKT5_lPKT6_lS7_PT7_PKS4_SH_21rocsparse_index_base_b, .Lfunc_end6-_ZN9rocsparseL17sddmm_coox_kernelILi512ELi8ELb0EfiifffEEv20rocsparse_operation_S1_16rocsparse_order_S2_T4_S3_S3_T3_NS_24const_host_device_scalarIT2_EEPKT5_lPKT6_lS7_PT7_PKS4_SH_21rocsparse_index_base_b
                                        ; -- End function
	.set _ZN9rocsparseL17sddmm_coox_kernelILi512ELi8ELb0EfiifffEEv20rocsparse_operation_S1_16rocsparse_order_S2_T4_S3_S3_T3_NS_24const_host_device_scalarIT2_EEPKT5_lPKT6_lS7_PT7_PKS4_SH_21rocsparse_index_base_b.num_vgpr, 18
	.set _ZN9rocsparseL17sddmm_coox_kernelILi512ELi8ELb0EfiifffEEv20rocsparse_operation_S1_16rocsparse_order_S2_T4_S3_S3_T3_NS_24const_host_device_scalarIT2_EEPKT5_lPKT6_lS7_PT7_PKS4_SH_21rocsparse_index_base_b.num_agpr, 0
	.set _ZN9rocsparseL17sddmm_coox_kernelILi512ELi8ELb0EfiifffEEv20rocsparse_operation_S1_16rocsparse_order_S2_T4_S3_S3_T3_NS_24const_host_device_scalarIT2_EEPKT5_lPKT6_lS7_PT7_PKS4_SH_21rocsparse_index_base_b.numbered_sgpr, 20
	.set _ZN9rocsparseL17sddmm_coox_kernelILi512ELi8ELb0EfiifffEEv20rocsparse_operation_S1_16rocsparse_order_S2_T4_S3_S3_T3_NS_24const_host_device_scalarIT2_EEPKT5_lPKT6_lS7_PT7_PKS4_SH_21rocsparse_index_base_b.num_named_barrier, 0
	.set _ZN9rocsparseL17sddmm_coox_kernelILi512ELi8ELb0EfiifffEEv20rocsparse_operation_S1_16rocsparse_order_S2_T4_S3_S3_T3_NS_24const_host_device_scalarIT2_EEPKT5_lPKT6_lS7_PT7_PKS4_SH_21rocsparse_index_base_b.private_seg_size, 0
	.set _ZN9rocsparseL17sddmm_coox_kernelILi512ELi8ELb0EfiifffEEv20rocsparse_operation_S1_16rocsparse_order_S2_T4_S3_S3_T3_NS_24const_host_device_scalarIT2_EEPKT5_lPKT6_lS7_PT7_PKS4_SH_21rocsparse_index_base_b.uses_vcc, 1
	.set _ZN9rocsparseL17sddmm_coox_kernelILi512ELi8ELb0EfiifffEEv20rocsparse_operation_S1_16rocsparse_order_S2_T4_S3_S3_T3_NS_24const_host_device_scalarIT2_EEPKT5_lPKT6_lS7_PT7_PKS4_SH_21rocsparse_index_base_b.uses_flat_scratch, 0
	.set _ZN9rocsparseL17sddmm_coox_kernelILi512ELi8ELb0EfiifffEEv20rocsparse_operation_S1_16rocsparse_order_S2_T4_S3_S3_T3_NS_24const_host_device_scalarIT2_EEPKT5_lPKT6_lS7_PT7_PKS4_SH_21rocsparse_index_base_b.has_dyn_sized_stack, 0
	.set _ZN9rocsparseL17sddmm_coox_kernelILi512ELi8ELb0EfiifffEEv20rocsparse_operation_S1_16rocsparse_order_S2_T4_S3_S3_T3_NS_24const_host_device_scalarIT2_EEPKT5_lPKT6_lS7_PT7_PKS4_SH_21rocsparse_index_base_b.has_recursion, 0
	.set _ZN9rocsparseL17sddmm_coox_kernelILi512ELi8ELb0EfiifffEEv20rocsparse_operation_S1_16rocsparse_order_S2_T4_S3_S3_T3_NS_24const_host_device_scalarIT2_EEPKT5_lPKT6_lS7_PT7_PKS4_SH_21rocsparse_index_base_b.has_indirect_call, 0
	.section	.AMDGPU.csdata,"",@progbits
; Kernel info:
; codeLenInByte = 1092
; TotalNumSgprs: 22
; NumVgprs: 18
; ScratchSize: 0
; MemoryBound: 0
; FloatMode: 240
; IeeeMode: 1
; LDSByteSize: 2048 bytes/workgroup (compile time only)
; SGPRBlocks: 0
; VGPRBlocks: 2
; NumSGPRsForWavesPerEU: 22
; NumVGPRsForWavesPerEU: 18
; Occupancy: 16
; WaveLimiterHint : 0
; COMPUTE_PGM_RSRC2:SCRATCH_EN: 0
; COMPUTE_PGM_RSRC2:USER_SGPR: 6
; COMPUTE_PGM_RSRC2:TRAP_HANDLER: 0
; COMPUTE_PGM_RSRC2:TGID_X_EN: 1
; COMPUTE_PGM_RSRC2:TGID_Y_EN: 0
; COMPUTE_PGM_RSRC2:TGID_Z_EN: 0
; COMPUTE_PGM_RSRC2:TIDIG_COMP_CNT: 0
	.section	.text._ZN9rocsparseL17sddmm_coox_kernelILi512ELi4ELb0EfiifffEEv20rocsparse_operation_S1_16rocsparse_order_S2_T4_S3_S3_T3_NS_24const_host_device_scalarIT2_EEPKT5_lPKT6_lS7_PT7_PKS4_SH_21rocsparse_index_base_b,"axG",@progbits,_ZN9rocsparseL17sddmm_coox_kernelILi512ELi4ELb0EfiifffEEv20rocsparse_operation_S1_16rocsparse_order_S2_T4_S3_S3_T3_NS_24const_host_device_scalarIT2_EEPKT5_lPKT6_lS7_PT7_PKS4_SH_21rocsparse_index_base_b,comdat
	.globl	_ZN9rocsparseL17sddmm_coox_kernelILi512ELi4ELb0EfiifffEEv20rocsparse_operation_S1_16rocsparse_order_S2_T4_S3_S3_T3_NS_24const_host_device_scalarIT2_EEPKT5_lPKT6_lS7_PT7_PKS4_SH_21rocsparse_index_base_b ; -- Begin function _ZN9rocsparseL17sddmm_coox_kernelILi512ELi4ELb0EfiifffEEv20rocsparse_operation_S1_16rocsparse_order_S2_T4_S3_S3_T3_NS_24const_host_device_scalarIT2_EEPKT5_lPKT6_lS7_PT7_PKS4_SH_21rocsparse_index_base_b
	.p2align	8
	.type	_ZN9rocsparseL17sddmm_coox_kernelILi512ELi4ELb0EfiifffEEv20rocsparse_operation_S1_16rocsparse_order_S2_T4_S3_S3_T3_NS_24const_host_device_scalarIT2_EEPKT5_lPKT6_lS7_PT7_PKS4_SH_21rocsparse_index_base_b,@function
_ZN9rocsparseL17sddmm_coox_kernelILi512ELi4ELb0EfiifffEEv20rocsparse_operation_S1_16rocsparse_order_S2_T4_S3_S3_T3_NS_24const_host_device_scalarIT2_EEPKT5_lPKT6_lS7_PT7_PKS4_SH_21rocsparse_index_base_b: ; @_ZN9rocsparseL17sddmm_coox_kernelILi512ELi4ELb0EfiifffEEv20rocsparse_operation_S1_16rocsparse_order_S2_T4_S3_S3_T3_NS_24const_host_device_scalarIT2_EEPKT5_lPKT6_lS7_PT7_PKS4_SH_21rocsparse_index_base_b
; %bb.0:
	s_clause 0x2
	s_load_dwordx2 s[16:17], s[4:5], 0x68
	s_load_dwordx2 s[12:13], s[4:5], 0x20
	s_load_dwordx4 s[0:3], s[4:5], 0x40
	s_waitcnt lgkmcnt(0)
	s_bitcmp1_b32 s17, 0
	s_cselect_b32 s7, -1, 0
	s_and_b32 vcc_lo, exec_lo, s7
	s_xor_b32 s7, s7, -1
	s_cbranch_vccnz .LBB7_2
; %bb.1:
	s_load_dword s12, s[12:13], 0x0
.LBB7_2:
	s_andn2_b32 vcc_lo, exec_lo, s7
	s_cbranch_vccnz .LBB7_4
; %bb.3:
	s_load_dword s2, s[2:3], 0x0
.LBB7_4:
	s_waitcnt lgkmcnt(0)
	v_cmp_eq_f32_e64 s3, s12, 0
	v_cmp_eq_f32_e64 s7, s2, 1.0
	s_and_b32 s3, s3, s7
	s_and_b32 vcc_lo, exec_lo, s3
	s_cbranch_vccnz .LBB7_32
; %bb.5:
	s_load_dwordx2 s[14:15], s[4:5], 0x18
	v_lshrrev_b32_e32 v9, 2, v0
	s_mov_b32 s3, exec_lo
	v_lshl_or_b32 v1, s6, 7, v9
	s_waitcnt lgkmcnt(0)
	v_cmpx_gt_i32_e64 s15, v1
	s_cbranch_execz .LBB7_32
; %bb.6:
	s_load_dwordx4 s[8:11], s[4:5], 0x58
	v_ashrrev_i32_e32 v2, 31, v1
	v_lshlrev_b64 v[1:2], 2, v[1:2]
	s_waitcnt lgkmcnt(0)
	v_add_co_u32 v3, vcc_lo, s8, v1
	v_add_co_ci_u32_e64 v4, null, s9, v2, vcc_lo
	global_load_dword v5, v[3:4], off
	v_add_co_u32 v3, vcc_lo, s10, v1
	v_add_co_ci_u32_e64 v4, null, s11, v2, vcc_lo
	global_load_dword v7, v[3:4], off
	s_clause 0x1
	s_load_dwordx4 s[8:11], s[4:5], 0x0
	s_load_dwordx2 s[6:7], s[4:5], 0x30
	s_waitcnt lgkmcnt(0)
	s_cmp_eq_u32 s10, 1
	s_cselect_b32 s3, -1, 0
	s_cmpk_eq_i32 s8, 0x6f
	s_cselect_b32 s13, -1, 0
	s_cmpk_lg_i32 s8, 0x6f
	s_cselect_b32 s8, -1, 0
	s_cmp_lg_u32 s10, 1
	s_waitcnt vmcnt(1)
	v_subrev_nc_u32_e32 v5, s16, v5
	v_ashrrev_i32_e32 v6, 31, v5
	s_cbranch_scc0 .LBB7_10
; %bb.7:
	v_mov_b32_e32 v3, v5
	v_mov_b32_e32 v4, v6
	s_andn2_b32 vcc_lo, exec_lo, s13
	s_cbranch_vccnz .LBB7_9
; %bb.8:
	v_mul_lo_u32 v8, s7, v5
	v_mul_lo_u32 v10, s6, v6
	v_mad_u64_u32 v[3:4], null, s6, v5, 0
	v_add3_u32 v4, v4, v10, v8
.LBB7_9:
	s_cbranch_execz .LBB7_11
	s_branch .LBB7_14
.LBB7_10:
                                        ; implicit-def: $vgpr3_vgpr4
.LBB7_11:
	s_andn2_b32 vcc_lo, exec_lo, s8
	s_cbranch_vccnz .LBB7_13
; %bb.12:
	v_mul_lo_u32 v3, s7, v5
	v_mul_lo_u32 v4, s6, v6
	v_mad_u64_u32 v[5:6], null, s6, v5, 0
	v_add3_u32 v6, v6, v4, v3
.LBB7_13:
	v_mov_b32_e32 v3, v5
	v_mov_b32_e32 v4, v6
.LBB7_14:
	s_waitcnt vmcnt(0)
	v_subrev_nc_u32_e32 v5, s16, v7
	s_cmp_eq_u32 s11, 1
	s_cselect_b32 s7, -1, 0
	s_cmpk_eq_i32 s9, 0x6f
	v_ashrrev_i32_e32 v6, 31, v5
	s_cselect_b32 s10, -1, 0
	s_cmpk_lg_i32 s9, 0x6f
	s_cselect_b32 s8, -1, 0
	s_cmp_lg_u32 s11, 1
	s_cbranch_scc0 .LBB7_18
; %bb.15:
	v_mov_b32_e32 v8, v6
	v_mov_b32_e32 v7, v5
	s_andn2_b32 vcc_lo, exec_lo, s8
	s_cbranch_vccnz .LBB7_17
; %bb.16:
	v_mul_lo_u32 v10, s1, v5
	v_mul_lo_u32 v11, s0, v6
	v_mad_u64_u32 v[7:8], null, s0, v5, 0
	v_add3_u32 v8, v8, v11, v10
.LBB7_17:
	s_cbranch_execz .LBB7_19
	s_branch .LBB7_22
.LBB7_18:
                                        ; implicit-def: $vgpr7_vgpr8
.LBB7_19:
	s_andn2_b32 vcc_lo, exec_lo, s10
	s_cbranch_vccnz .LBB7_21
; %bb.20:
	v_mul_lo_u32 v7, s1, v5
	v_mul_lo_u32 v8, s0, v6
	v_mad_u64_u32 v[5:6], null, s0, v5, 0
	v_add3_u32 v6, v6, v8, v7
.LBB7_21:
	v_mov_b32_e32 v8, v6
	v_mov_b32_e32 v7, v5
.LBB7_22:
	s_load_dwordx2 s[8:9], s[4:5], 0x50
	v_and_b32_e32 v0, 3, v0
	v_mov_b32_e32 v10, 0
	s_mov_b32 s1, exec_lo
	v_cmpx_gt_i32_e64 s14, v0
	s_cbranch_execz .LBB7_26
; %bb.23:
	s_clause 0x1
	s_load_dwordx2 s[16:17], s[4:5], 0x38
	s_load_dwordx2 s[4:5], s[4:5], 0x28
	s_xor_b32 s3, s13, s3
	v_lshlrev_b64 v[7:8], 2, v[7:8]
	s_and_b32 s3, s3, exec_lo
	v_lshlrev_b64 v[11:12], 2, v[3:4]
	s_cselect_b32 s3, 1, s6
	s_xor_b32 s6, s10, s7
	v_mul_lo_u32 v3, s3, v0
	s_and_b32 s6, s6, exec_lo
	s_cselect_b32 s0, s0, 1
	v_mov_b32_e32 v10, 0
	v_mul_lo_u32 v5, s0, v0
	v_mov_b32_e32 v13, v0
	s_lshl_b32 s0, s0, 2
	s_waitcnt lgkmcnt(0)
	v_add_co_u32 v7, vcc_lo, s16, v7
	v_add_co_ci_u32_e64 v8, null, s17, v8, vcc_lo
	v_add_co_u32 v11, vcc_lo, s4, v11
	v_add_co_ci_u32_e64 v12, null, s5, v12, vcc_lo
	s_lshl_b32 s4, s3, 2
	s_mov_b32 s3, 0
	.p2align	6
.LBB7_24:                               ; =>This Inner Loop Header: Depth=1
	v_ashrrev_i32_e32 v4, 31, v3
	v_ashrrev_i32_e32 v6, 31, v5
	v_add_nc_u32_e32 v13, 4, v13
	v_lshlrev_b64 v[14:15], 2, v[3:4]
	v_lshlrev_b64 v[16:17], 2, v[5:6]
	v_add_nc_u32_e32 v5, s0, v5
	v_add_nc_u32_e32 v3, s4, v3
	v_add_co_u32 v14, vcc_lo, v11, v14
	v_add_co_ci_u32_e64 v15, null, v12, v15, vcc_lo
	v_add_co_u32 v16, vcc_lo, v7, v16
	v_add_co_ci_u32_e64 v17, null, v8, v17, vcc_lo
	global_load_dword v4, v[14:15], off
	global_load_dword v6, v[16:17], off
	v_cmp_le_i32_e32 vcc_lo, s14, v13
	s_or_b32 s3, vcc_lo, s3
	s_waitcnt vmcnt(0)
	v_fmac_f32_e32 v10, v4, v6
	s_andn2_b32 exec_lo, exec_lo, s3
	s_cbranch_execnz .LBB7_24
; %bb.25:
	s_or_b32 exec_lo, exec_lo, s3
.LBB7_26:
	s_or_b32 exec_lo, exec_lo, s1
	v_lshlrev_b32_e32 v3, 4, v9
	s_mov_b32 s0, exec_lo
	v_lshl_or_b32 v4, v0, 2, v3
	ds_write_b32 v4, v10
	s_waitcnt lgkmcnt(0)
	s_barrier
	buffer_gl0_inv
	v_cmpx_gt_u32_e32 2, v0
	s_cbranch_execz .LBB7_28
; %bb.27:
	ds_read2_b32 v[5:6], v4 offset1:2
	s_waitcnt lgkmcnt(0)
	v_add_f32_e32 v5, v6, v5
	ds_write_b32 v4, v5
.LBB7_28:
	s_or_b32 exec_lo, exec_lo, s0
	v_cmp_eq_u32_e32 vcc_lo, 0, v0
	s_waitcnt lgkmcnt(0)
	s_barrier
	buffer_gl0_inv
	s_and_saveexec_b32 s0, vcc_lo
	s_cbranch_execz .LBB7_30
; %bb.29:
	ds_read2_b32 v[5:6], v4 offset1:1
	s_waitcnt lgkmcnt(0)
	v_add_f32_e32 v0, v6, v5
	ds_write_b32 v4, v0
.LBB7_30:
	s_or_b32 exec_lo, exec_lo, s0
	s_waitcnt lgkmcnt(0)
	s_barrier
	buffer_gl0_inv
	s_and_b32 exec_lo, exec_lo, vcc_lo
	s_cbranch_execz .LBB7_32
; %bb.31:
	v_add_co_u32 v0, vcc_lo, s8, v1
	v_add_co_ci_u32_e64 v1, null, s9, v2, vcc_lo
	ds_read_b32 v3, v3
	global_load_dword v2, v[0:1], off
	s_waitcnt lgkmcnt(0)
	v_mul_f32_e32 v3, s12, v3
	s_waitcnt vmcnt(0)
	v_fmac_f32_e32 v3, s2, v2
	global_store_dword v[0:1], v3, off
.LBB7_32:
	s_endpgm
	.section	.rodata,"a",@progbits
	.p2align	6, 0x0
	.amdhsa_kernel _ZN9rocsparseL17sddmm_coox_kernelILi512ELi4ELb0EfiifffEEv20rocsparse_operation_S1_16rocsparse_order_S2_T4_S3_S3_T3_NS_24const_host_device_scalarIT2_EEPKT5_lPKT6_lS7_PT7_PKS4_SH_21rocsparse_index_base_b
		.amdhsa_group_segment_fixed_size 2048
		.amdhsa_private_segment_fixed_size 0
		.amdhsa_kernarg_size 112
		.amdhsa_user_sgpr_count 6
		.amdhsa_user_sgpr_private_segment_buffer 1
		.amdhsa_user_sgpr_dispatch_ptr 0
		.amdhsa_user_sgpr_queue_ptr 0
		.amdhsa_user_sgpr_kernarg_segment_ptr 1
		.amdhsa_user_sgpr_dispatch_id 0
		.amdhsa_user_sgpr_flat_scratch_init 0
		.amdhsa_user_sgpr_private_segment_size 0
		.amdhsa_wavefront_size32 1
		.amdhsa_uses_dynamic_stack 0
		.amdhsa_system_sgpr_private_segment_wavefront_offset 0
		.amdhsa_system_sgpr_workgroup_id_x 1
		.amdhsa_system_sgpr_workgroup_id_y 0
		.amdhsa_system_sgpr_workgroup_id_z 0
		.amdhsa_system_sgpr_workgroup_info 0
		.amdhsa_system_vgpr_workitem_id 0
		.amdhsa_next_free_vgpr 18
		.amdhsa_next_free_sgpr 18
		.amdhsa_reserve_vcc 1
		.amdhsa_reserve_flat_scratch 0
		.amdhsa_float_round_mode_32 0
		.amdhsa_float_round_mode_16_64 0
		.amdhsa_float_denorm_mode_32 3
		.amdhsa_float_denorm_mode_16_64 3
		.amdhsa_dx10_clamp 1
		.amdhsa_ieee_mode 1
		.amdhsa_fp16_overflow 0
		.amdhsa_workgroup_processor_mode 1
		.amdhsa_memory_ordered 1
		.amdhsa_forward_progress 1
		.amdhsa_shared_vgpr_count 0
		.amdhsa_exception_fp_ieee_invalid_op 0
		.amdhsa_exception_fp_denorm_src 0
		.amdhsa_exception_fp_ieee_div_zero 0
		.amdhsa_exception_fp_ieee_overflow 0
		.amdhsa_exception_fp_ieee_underflow 0
		.amdhsa_exception_fp_ieee_inexact 0
		.amdhsa_exception_int_div_zero 0
	.end_amdhsa_kernel
	.section	.text._ZN9rocsparseL17sddmm_coox_kernelILi512ELi4ELb0EfiifffEEv20rocsparse_operation_S1_16rocsparse_order_S2_T4_S3_S3_T3_NS_24const_host_device_scalarIT2_EEPKT5_lPKT6_lS7_PT7_PKS4_SH_21rocsparse_index_base_b,"axG",@progbits,_ZN9rocsparseL17sddmm_coox_kernelILi512ELi4ELb0EfiifffEEv20rocsparse_operation_S1_16rocsparse_order_S2_T4_S3_S3_T3_NS_24const_host_device_scalarIT2_EEPKT5_lPKT6_lS7_PT7_PKS4_SH_21rocsparse_index_base_b,comdat
.Lfunc_end7:
	.size	_ZN9rocsparseL17sddmm_coox_kernelILi512ELi4ELb0EfiifffEEv20rocsparse_operation_S1_16rocsparse_order_S2_T4_S3_S3_T3_NS_24const_host_device_scalarIT2_EEPKT5_lPKT6_lS7_PT7_PKS4_SH_21rocsparse_index_base_b, .Lfunc_end7-_ZN9rocsparseL17sddmm_coox_kernelILi512ELi4ELb0EfiifffEEv20rocsparse_operation_S1_16rocsparse_order_S2_T4_S3_S3_T3_NS_24const_host_device_scalarIT2_EEPKT5_lPKT6_lS7_PT7_PKS4_SH_21rocsparse_index_base_b
                                        ; -- End function
	.set _ZN9rocsparseL17sddmm_coox_kernelILi512ELi4ELb0EfiifffEEv20rocsparse_operation_S1_16rocsparse_order_S2_T4_S3_S3_T3_NS_24const_host_device_scalarIT2_EEPKT5_lPKT6_lS7_PT7_PKS4_SH_21rocsparse_index_base_b.num_vgpr, 18
	.set _ZN9rocsparseL17sddmm_coox_kernelILi512ELi4ELb0EfiifffEEv20rocsparse_operation_S1_16rocsparse_order_S2_T4_S3_S3_T3_NS_24const_host_device_scalarIT2_EEPKT5_lPKT6_lS7_PT7_PKS4_SH_21rocsparse_index_base_b.num_agpr, 0
	.set _ZN9rocsparseL17sddmm_coox_kernelILi512ELi4ELb0EfiifffEEv20rocsparse_operation_S1_16rocsparse_order_S2_T4_S3_S3_T3_NS_24const_host_device_scalarIT2_EEPKT5_lPKT6_lS7_PT7_PKS4_SH_21rocsparse_index_base_b.numbered_sgpr, 18
	.set _ZN9rocsparseL17sddmm_coox_kernelILi512ELi4ELb0EfiifffEEv20rocsparse_operation_S1_16rocsparse_order_S2_T4_S3_S3_T3_NS_24const_host_device_scalarIT2_EEPKT5_lPKT6_lS7_PT7_PKS4_SH_21rocsparse_index_base_b.num_named_barrier, 0
	.set _ZN9rocsparseL17sddmm_coox_kernelILi512ELi4ELb0EfiifffEEv20rocsparse_operation_S1_16rocsparse_order_S2_T4_S3_S3_T3_NS_24const_host_device_scalarIT2_EEPKT5_lPKT6_lS7_PT7_PKS4_SH_21rocsparse_index_base_b.private_seg_size, 0
	.set _ZN9rocsparseL17sddmm_coox_kernelILi512ELi4ELb0EfiifffEEv20rocsparse_operation_S1_16rocsparse_order_S2_T4_S3_S3_T3_NS_24const_host_device_scalarIT2_EEPKT5_lPKT6_lS7_PT7_PKS4_SH_21rocsparse_index_base_b.uses_vcc, 1
	.set _ZN9rocsparseL17sddmm_coox_kernelILi512ELi4ELb0EfiifffEEv20rocsparse_operation_S1_16rocsparse_order_S2_T4_S3_S3_T3_NS_24const_host_device_scalarIT2_EEPKT5_lPKT6_lS7_PT7_PKS4_SH_21rocsparse_index_base_b.uses_flat_scratch, 0
	.set _ZN9rocsparseL17sddmm_coox_kernelILi512ELi4ELb0EfiifffEEv20rocsparse_operation_S1_16rocsparse_order_S2_T4_S3_S3_T3_NS_24const_host_device_scalarIT2_EEPKT5_lPKT6_lS7_PT7_PKS4_SH_21rocsparse_index_base_b.has_dyn_sized_stack, 0
	.set _ZN9rocsparseL17sddmm_coox_kernelILi512ELi4ELb0EfiifffEEv20rocsparse_operation_S1_16rocsparse_order_S2_T4_S3_S3_T3_NS_24const_host_device_scalarIT2_EEPKT5_lPKT6_lS7_PT7_PKS4_SH_21rocsparse_index_base_b.has_recursion, 0
	.set _ZN9rocsparseL17sddmm_coox_kernelILi512ELi4ELb0EfiifffEEv20rocsparse_operation_S1_16rocsparse_order_S2_T4_S3_S3_T3_NS_24const_host_device_scalarIT2_EEPKT5_lPKT6_lS7_PT7_PKS4_SH_21rocsparse_index_base_b.has_indirect_call, 0
	.section	.AMDGPU.csdata,"",@progbits
; Kernel info:
; codeLenInByte = 1036
; TotalNumSgprs: 20
; NumVgprs: 18
; ScratchSize: 0
; MemoryBound: 0
; FloatMode: 240
; IeeeMode: 1
; LDSByteSize: 2048 bytes/workgroup (compile time only)
; SGPRBlocks: 0
; VGPRBlocks: 2
; NumSGPRsForWavesPerEU: 20
; NumVGPRsForWavesPerEU: 18
; Occupancy: 16
; WaveLimiterHint : 0
; COMPUTE_PGM_RSRC2:SCRATCH_EN: 0
; COMPUTE_PGM_RSRC2:USER_SGPR: 6
; COMPUTE_PGM_RSRC2:TRAP_HANDLER: 0
; COMPUTE_PGM_RSRC2:TGID_X_EN: 1
; COMPUTE_PGM_RSRC2:TGID_Y_EN: 0
; COMPUTE_PGM_RSRC2:TGID_Z_EN: 0
; COMPUTE_PGM_RSRC2:TIDIG_COMP_CNT: 0
	.section	.text._ZN9rocsparseL17sddmm_coox_kernelILi512ELi2ELb0EfiifffEEv20rocsparse_operation_S1_16rocsparse_order_S2_T4_S3_S3_T3_NS_24const_host_device_scalarIT2_EEPKT5_lPKT6_lS7_PT7_PKS4_SH_21rocsparse_index_base_b,"axG",@progbits,_ZN9rocsparseL17sddmm_coox_kernelILi512ELi2ELb0EfiifffEEv20rocsparse_operation_S1_16rocsparse_order_S2_T4_S3_S3_T3_NS_24const_host_device_scalarIT2_EEPKT5_lPKT6_lS7_PT7_PKS4_SH_21rocsparse_index_base_b,comdat
	.globl	_ZN9rocsparseL17sddmm_coox_kernelILi512ELi2ELb0EfiifffEEv20rocsparse_operation_S1_16rocsparse_order_S2_T4_S3_S3_T3_NS_24const_host_device_scalarIT2_EEPKT5_lPKT6_lS7_PT7_PKS4_SH_21rocsparse_index_base_b ; -- Begin function _ZN9rocsparseL17sddmm_coox_kernelILi512ELi2ELb0EfiifffEEv20rocsparse_operation_S1_16rocsparse_order_S2_T4_S3_S3_T3_NS_24const_host_device_scalarIT2_EEPKT5_lPKT6_lS7_PT7_PKS4_SH_21rocsparse_index_base_b
	.p2align	8
	.type	_ZN9rocsparseL17sddmm_coox_kernelILi512ELi2ELb0EfiifffEEv20rocsparse_operation_S1_16rocsparse_order_S2_T4_S3_S3_T3_NS_24const_host_device_scalarIT2_EEPKT5_lPKT6_lS7_PT7_PKS4_SH_21rocsparse_index_base_b,@function
_ZN9rocsparseL17sddmm_coox_kernelILi512ELi2ELb0EfiifffEEv20rocsparse_operation_S1_16rocsparse_order_S2_T4_S3_S3_T3_NS_24const_host_device_scalarIT2_EEPKT5_lPKT6_lS7_PT7_PKS4_SH_21rocsparse_index_base_b: ; @_ZN9rocsparseL17sddmm_coox_kernelILi512ELi2ELb0EfiifffEEv20rocsparse_operation_S1_16rocsparse_order_S2_T4_S3_S3_T3_NS_24const_host_device_scalarIT2_EEPKT5_lPKT6_lS7_PT7_PKS4_SH_21rocsparse_index_base_b
; %bb.0:
	s_clause 0x2
	s_load_dwordx2 s[16:17], s[4:5], 0x68
	s_load_dwordx2 s[12:13], s[4:5], 0x20
	s_load_dwordx4 s[0:3], s[4:5], 0x40
	s_waitcnt lgkmcnt(0)
	s_bitcmp1_b32 s17, 0
	s_cselect_b32 s7, -1, 0
	s_and_b32 vcc_lo, exec_lo, s7
	s_xor_b32 s7, s7, -1
	s_cbranch_vccnz .LBB8_2
; %bb.1:
	s_load_dword s12, s[12:13], 0x0
.LBB8_2:
	s_andn2_b32 vcc_lo, exec_lo, s7
	s_cbranch_vccnz .LBB8_4
; %bb.3:
	s_load_dword s2, s[2:3], 0x0
.LBB8_4:
	s_waitcnt lgkmcnt(0)
	v_cmp_eq_f32_e64 s3, s12, 0
	v_cmp_eq_f32_e64 s7, s2, 1.0
	s_and_b32 s3, s3, s7
	s_and_b32 vcc_lo, exec_lo, s3
	s_cbranch_vccnz .LBB8_30
; %bb.5:
	s_load_dwordx2 s[14:15], s[4:5], 0x18
	v_lshrrev_b32_e32 v9, 1, v0
	s_mov_b32 s3, exec_lo
	v_lshl_or_b32 v1, s6, 8, v9
	s_waitcnt lgkmcnt(0)
	v_cmpx_gt_i32_e64 s15, v1
	s_cbranch_execz .LBB8_30
; %bb.6:
	s_load_dwordx4 s[8:11], s[4:5], 0x58
	v_ashrrev_i32_e32 v2, 31, v1
	v_lshlrev_b64 v[1:2], 2, v[1:2]
	s_waitcnt lgkmcnt(0)
	v_add_co_u32 v3, vcc_lo, s8, v1
	v_add_co_ci_u32_e64 v4, null, s9, v2, vcc_lo
	global_load_dword v5, v[3:4], off
	v_add_co_u32 v3, vcc_lo, s10, v1
	v_add_co_ci_u32_e64 v4, null, s11, v2, vcc_lo
	global_load_dword v7, v[3:4], off
	s_clause 0x1
	s_load_dwordx4 s[8:11], s[4:5], 0x0
	s_load_dwordx2 s[6:7], s[4:5], 0x30
	s_waitcnt lgkmcnt(0)
	s_cmp_eq_u32 s10, 1
	s_cselect_b32 s3, -1, 0
	s_cmpk_eq_i32 s8, 0x6f
	s_cselect_b32 s13, -1, 0
	s_cmpk_lg_i32 s8, 0x6f
	s_cselect_b32 s8, -1, 0
	s_cmp_lg_u32 s10, 1
	s_waitcnt vmcnt(1)
	v_subrev_nc_u32_e32 v5, s16, v5
	v_ashrrev_i32_e32 v6, 31, v5
	s_cbranch_scc0 .LBB8_10
; %bb.7:
	v_mov_b32_e32 v3, v5
	v_mov_b32_e32 v4, v6
	s_andn2_b32 vcc_lo, exec_lo, s13
	s_cbranch_vccnz .LBB8_9
; %bb.8:
	v_mul_lo_u32 v8, s7, v5
	v_mul_lo_u32 v10, s6, v6
	v_mad_u64_u32 v[3:4], null, s6, v5, 0
	v_add3_u32 v4, v4, v10, v8
.LBB8_9:
	s_cbranch_execz .LBB8_11
	s_branch .LBB8_14
.LBB8_10:
                                        ; implicit-def: $vgpr3_vgpr4
.LBB8_11:
	s_andn2_b32 vcc_lo, exec_lo, s8
	s_cbranch_vccnz .LBB8_13
; %bb.12:
	v_mul_lo_u32 v3, s7, v5
	v_mul_lo_u32 v4, s6, v6
	v_mad_u64_u32 v[5:6], null, s6, v5, 0
	v_add3_u32 v6, v6, v4, v3
.LBB8_13:
	v_mov_b32_e32 v3, v5
	v_mov_b32_e32 v4, v6
.LBB8_14:
	s_waitcnt vmcnt(0)
	v_subrev_nc_u32_e32 v5, s16, v7
	s_cmp_eq_u32 s11, 1
	s_cselect_b32 s7, -1, 0
	s_cmpk_eq_i32 s9, 0x6f
	v_ashrrev_i32_e32 v6, 31, v5
	s_cselect_b32 s10, -1, 0
	s_cmpk_lg_i32 s9, 0x6f
	s_cselect_b32 s8, -1, 0
	s_cmp_lg_u32 s11, 1
	s_cbranch_scc0 .LBB8_18
; %bb.15:
	v_mov_b32_e32 v8, v6
	v_mov_b32_e32 v7, v5
	s_andn2_b32 vcc_lo, exec_lo, s8
	s_cbranch_vccnz .LBB8_17
; %bb.16:
	v_mul_lo_u32 v10, s1, v5
	v_mul_lo_u32 v11, s0, v6
	v_mad_u64_u32 v[7:8], null, s0, v5, 0
	v_add3_u32 v8, v8, v11, v10
.LBB8_17:
	s_cbranch_execz .LBB8_19
	s_branch .LBB8_22
.LBB8_18:
                                        ; implicit-def: $vgpr7_vgpr8
.LBB8_19:
	s_andn2_b32 vcc_lo, exec_lo, s10
	s_cbranch_vccnz .LBB8_21
; %bb.20:
	v_mul_lo_u32 v7, s1, v5
	v_mul_lo_u32 v8, s0, v6
	v_mad_u64_u32 v[5:6], null, s0, v5, 0
	v_add3_u32 v6, v6, v8, v7
.LBB8_21:
	v_mov_b32_e32 v8, v6
	v_mov_b32_e32 v7, v5
.LBB8_22:
	s_load_dwordx2 s[8:9], s[4:5], 0x50
	v_and_b32_e32 v0, 1, v0
	v_mov_b32_e32 v10, 0
	s_mov_b32 s1, exec_lo
	v_cmpx_gt_i32_e64 s14, v0
	s_cbranch_execz .LBB8_26
; %bb.23:
	s_clause 0x1
	s_load_dwordx2 s[16:17], s[4:5], 0x38
	s_load_dwordx2 s[4:5], s[4:5], 0x28
	s_xor_b32 s3, s13, s3
	v_lshlrev_b64 v[7:8], 2, v[7:8]
	s_and_b32 s3, s3, exec_lo
	v_lshlrev_b64 v[11:12], 2, v[3:4]
	s_cselect_b32 s3, 1, s6
	s_xor_b32 s6, s10, s7
	v_mul_lo_u32 v3, s3, v0
	s_and_b32 s6, s6, exec_lo
	s_cselect_b32 s0, s0, 1
	v_mov_b32_e32 v10, 0
	v_mul_lo_u32 v5, s0, v0
	v_mov_b32_e32 v13, v0
	s_lshl_b32 s0, s0, 1
	s_waitcnt lgkmcnt(0)
	v_add_co_u32 v7, vcc_lo, s16, v7
	v_add_co_ci_u32_e64 v8, null, s17, v8, vcc_lo
	v_add_co_u32 v11, vcc_lo, s4, v11
	v_add_co_ci_u32_e64 v12, null, s5, v12, vcc_lo
	s_lshl_b32 s4, s3, 1
	s_mov_b32 s3, 0
	.p2align	6
.LBB8_24:                               ; =>This Inner Loop Header: Depth=1
	v_ashrrev_i32_e32 v4, 31, v3
	v_ashrrev_i32_e32 v6, 31, v5
	v_add_nc_u32_e32 v13, 2, v13
	v_lshlrev_b64 v[14:15], 2, v[3:4]
	v_lshlrev_b64 v[16:17], 2, v[5:6]
	v_add_nc_u32_e32 v5, s0, v5
	v_add_nc_u32_e32 v3, s4, v3
	v_add_co_u32 v14, vcc_lo, v11, v14
	v_add_co_ci_u32_e64 v15, null, v12, v15, vcc_lo
	v_add_co_u32 v16, vcc_lo, v7, v16
	v_add_co_ci_u32_e64 v17, null, v8, v17, vcc_lo
	global_load_dword v4, v[14:15], off
	global_load_dword v6, v[16:17], off
	v_cmp_le_i32_e32 vcc_lo, s14, v13
	s_or_b32 s3, vcc_lo, s3
	s_waitcnt vmcnt(0)
	v_fmac_f32_e32 v10, v4, v6
	s_andn2_b32 exec_lo, exec_lo, s3
	s_cbranch_execnz .LBB8_24
; %bb.25:
	s_or_b32 exec_lo, exec_lo, s3
.LBB8_26:
	s_or_b32 exec_lo, exec_lo, s1
	v_lshlrev_b32_e32 v3, 3, v9
	v_cmp_eq_u32_e32 vcc_lo, 0, v0
	v_lshl_or_b32 v4, v0, 2, v3
	ds_write_b32 v4, v10
	s_waitcnt lgkmcnt(0)
	s_barrier
	buffer_gl0_inv
	s_and_saveexec_b32 s0, vcc_lo
	s_cbranch_execz .LBB8_28
; %bb.27:
	ds_read_b32 v0, v3 offset:4
	ds_read_b32 v5, v4
	s_waitcnt lgkmcnt(0)
	v_add_f32_e32 v0, v0, v5
	ds_write_b32 v4, v0
.LBB8_28:
	s_or_b32 exec_lo, exec_lo, s0
	s_waitcnt lgkmcnt(0)
	s_barrier
	buffer_gl0_inv
	s_and_b32 exec_lo, exec_lo, vcc_lo
	s_cbranch_execz .LBB8_30
; %bb.29:
	v_add_co_u32 v0, vcc_lo, s8, v1
	v_add_co_ci_u32_e64 v1, null, s9, v2, vcc_lo
	ds_read_b32 v3, v3
	global_load_dword v2, v[0:1], off
	s_waitcnt lgkmcnt(0)
	v_mul_f32_e32 v3, s12, v3
	s_waitcnt vmcnt(0)
	v_fmac_f32_e32 v3, s2, v2
	global_store_dword v[0:1], v3, off
.LBB8_30:
	s_endpgm
	.section	.rodata,"a",@progbits
	.p2align	6, 0x0
	.amdhsa_kernel _ZN9rocsparseL17sddmm_coox_kernelILi512ELi2ELb0EfiifffEEv20rocsparse_operation_S1_16rocsparse_order_S2_T4_S3_S3_T3_NS_24const_host_device_scalarIT2_EEPKT5_lPKT6_lS7_PT7_PKS4_SH_21rocsparse_index_base_b
		.amdhsa_group_segment_fixed_size 2048
		.amdhsa_private_segment_fixed_size 0
		.amdhsa_kernarg_size 112
		.amdhsa_user_sgpr_count 6
		.amdhsa_user_sgpr_private_segment_buffer 1
		.amdhsa_user_sgpr_dispatch_ptr 0
		.amdhsa_user_sgpr_queue_ptr 0
		.amdhsa_user_sgpr_kernarg_segment_ptr 1
		.amdhsa_user_sgpr_dispatch_id 0
		.amdhsa_user_sgpr_flat_scratch_init 0
		.amdhsa_user_sgpr_private_segment_size 0
		.amdhsa_wavefront_size32 1
		.amdhsa_uses_dynamic_stack 0
		.amdhsa_system_sgpr_private_segment_wavefront_offset 0
		.amdhsa_system_sgpr_workgroup_id_x 1
		.amdhsa_system_sgpr_workgroup_id_y 0
		.amdhsa_system_sgpr_workgroup_id_z 0
		.amdhsa_system_sgpr_workgroup_info 0
		.amdhsa_system_vgpr_workitem_id 0
		.amdhsa_next_free_vgpr 18
		.amdhsa_next_free_sgpr 18
		.amdhsa_reserve_vcc 1
		.amdhsa_reserve_flat_scratch 0
		.amdhsa_float_round_mode_32 0
		.amdhsa_float_round_mode_16_64 0
		.amdhsa_float_denorm_mode_32 3
		.amdhsa_float_denorm_mode_16_64 3
		.amdhsa_dx10_clamp 1
		.amdhsa_ieee_mode 1
		.amdhsa_fp16_overflow 0
		.amdhsa_workgroup_processor_mode 1
		.amdhsa_memory_ordered 1
		.amdhsa_forward_progress 1
		.amdhsa_shared_vgpr_count 0
		.amdhsa_exception_fp_ieee_invalid_op 0
		.amdhsa_exception_fp_denorm_src 0
		.amdhsa_exception_fp_ieee_div_zero 0
		.amdhsa_exception_fp_ieee_overflow 0
		.amdhsa_exception_fp_ieee_underflow 0
		.amdhsa_exception_fp_ieee_inexact 0
		.amdhsa_exception_int_div_zero 0
	.end_amdhsa_kernel
	.section	.text._ZN9rocsparseL17sddmm_coox_kernelILi512ELi2ELb0EfiifffEEv20rocsparse_operation_S1_16rocsparse_order_S2_T4_S3_S3_T3_NS_24const_host_device_scalarIT2_EEPKT5_lPKT6_lS7_PT7_PKS4_SH_21rocsparse_index_base_b,"axG",@progbits,_ZN9rocsparseL17sddmm_coox_kernelILi512ELi2ELb0EfiifffEEv20rocsparse_operation_S1_16rocsparse_order_S2_T4_S3_S3_T3_NS_24const_host_device_scalarIT2_EEPKT5_lPKT6_lS7_PT7_PKS4_SH_21rocsparse_index_base_b,comdat
.Lfunc_end8:
	.size	_ZN9rocsparseL17sddmm_coox_kernelILi512ELi2ELb0EfiifffEEv20rocsparse_operation_S1_16rocsparse_order_S2_T4_S3_S3_T3_NS_24const_host_device_scalarIT2_EEPKT5_lPKT6_lS7_PT7_PKS4_SH_21rocsparse_index_base_b, .Lfunc_end8-_ZN9rocsparseL17sddmm_coox_kernelILi512ELi2ELb0EfiifffEEv20rocsparse_operation_S1_16rocsparse_order_S2_T4_S3_S3_T3_NS_24const_host_device_scalarIT2_EEPKT5_lPKT6_lS7_PT7_PKS4_SH_21rocsparse_index_base_b
                                        ; -- End function
	.set _ZN9rocsparseL17sddmm_coox_kernelILi512ELi2ELb0EfiifffEEv20rocsparse_operation_S1_16rocsparse_order_S2_T4_S3_S3_T3_NS_24const_host_device_scalarIT2_EEPKT5_lPKT6_lS7_PT7_PKS4_SH_21rocsparse_index_base_b.num_vgpr, 18
	.set _ZN9rocsparseL17sddmm_coox_kernelILi512ELi2ELb0EfiifffEEv20rocsparse_operation_S1_16rocsparse_order_S2_T4_S3_S3_T3_NS_24const_host_device_scalarIT2_EEPKT5_lPKT6_lS7_PT7_PKS4_SH_21rocsparse_index_base_b.num_agpr, 0
	.set _ZN9rocsparseL17sddmm_coox_kernelILi512ELi2ELb0EfiifffEEv20rocsparse_operation_S1_16rocsparse_order_S2_T4_S3_S3_T3_NS_24const_host_device_scalarIT2_EEPKT5_lPKT6_lS7_PT7_PKS4_SH_21rocsparse_index_base_b.numbered_sgpr, 18
	.set _ZN9rocsparseL17sddmm_coox_kernelILi512ELi2ELb0EfiifffEEv20rocsparse_operation_S1_16rocsparse_order_S2_T4_S3_S3_T3_NS_24const_host_device_scalarIT2_EEPKT5_lPKT6_lS7_PT7_PKS4_SH_21rocsparse_index_base_b.num_named_barrier, 0
	.set _ZN9rocsparseL17sddmm_coox_kernelILi512ELi2ELb0EfiifffEEv20rocsparse_operation_S1_16rocsparse_order_S2_T4_S3_S3_T3_NS_24const_host_device_scalarIT2_EEPKT5_lPKT6_lS7_PT7_PKS4_SH_21rocsparse_index_base_b.private_seg_size, 0
	.set _ZN9rocsparseL17sddmm_coox_kernelILi512ELi2ELb0EfiifffEEv20rocsparse_operation_S1_16rocsparse_order_S2_T4_S3_S3_T3_NS_24const_host_device_scalarIT2_EEPKT5_lPKT6_lS7_PT7_PKS4_SH_21rocsparse_index_base_b.uses_vcc, 1
	.set _ZN9rocsparseL17sddmm_coox_kernelILi512ELi2ELb0EfiifffEEv20rocsparse_operation_S1_16rocsparse_order_S2_T4_S3_S3_T3_NS_24const_host_device_scalarIT2_EEPKT5_lPKT6_lS7_PT7_PKS4_SH_21rocsparse_index_base_b.uses_flat_scratch, 0
	.set _ZN9rocsparseL17sddmm_coox_kernelILi512ELi2ELb0EfiifffEEv20rocsparse_operation_S1_16rocsparse_order_S2_T4_S3_S3_T3_NS_24const_host_device_scalarIT2_EEPKT5_lPKT6_lS7_PT7_PKS4_SH_21rocsparse_index_base_b.has_dyn_sized_stack, 0
	.set _ZN9rocsparseL17sddmm_coox_kernelILi512ELi2ELb0EfiifffEEv20rocsparse_operation_S1_16rocsparse_order_S2_T4_S3_S3_T3_NS_24const_host_device_scalarIT2_EEPKT5_lPKT6_lS7_PT7_PKS4_SH_21rocsparse_index_base_b.has_recursion, 0
	.set _ZN9rocsparseL17sddmm_coox_kernelILi512ELi2ELb0EfiifffEEv20rocsparse_operation_S1_16rocsparse_order_S2_T4_S3_S3_T3_NS_24const_host_device_scalarIT2_EEPKT5_lPKT6_lS7_PT7_PKS4_SH_21rocsparse_index_base_b.has_indirect_call, 0
	.section	.AMDGPU.csdata,"",@progbits
; Kernel info:
; codeLenInByte = 988
; TotalNumSgprs: 20
; NumVgprs: 18
; ScratchSize: 0
; MemoryBound: 0
; FloatMode: 240
; IeeeMode: 1
; LDSByteSize: 2048 bytes/workgroup (compile time only)
; SGPRBlocks: 0
; VGPRBlocks: 2
; NumSGPRsForWavesPerEU: 20
; NumVGPRsForWavesPerEU: 18
; Occupancy: 16
; WaveLimiterHint : 0
; COMPUTE_PGM_RSRC2:SCRATCH_EN: 0
; COMPUTE_PGM_RSRC2:USER_SGPR: 6
; COMPUTE_PGM_RSRC2:TRAP_HANDLER: 0
; COMPUTE_PGM_RSRC2:TGID_X_EN: 1
; COMPUTE_PGM_RSRC2:TGID_Y_EN: 0
; COMPUTE_PGM_RSRC2:TGID_Z_EN: 0
; COMPUTE_PGM_RSRC2:TIDIG_COMP_CNT: 0
	.section	.text._ZN9rocsparseL17sddmm_coox_kernelILi512ELi1ELb0EfiifffEEv20rocsparse_operation_S1_16rocsparse_order_S2_T4_S3_S3_T3_NS_24const_host_device_scalarIT2_EEPKT5_lPKT6_lS7_PT7_PKS4_SH_21rocsparse_index_base_b,"axG",@progbits,_ZN9rocsparseL17sddmm_coox_kernelILi512ELi1ELb0EfiifffEEv20rocsparse_operation_S1_16rocsparse_order_S2_T4_S3_S3_T3_NS_24const_host_device_scalarIT2_EEPKT5_lPKT6_lS7_PT7_PKS4_SH_21rocsparse_index_base_b,comdat
	.globl	_ZN9rocsparseL17sddmm_coox_kernelILi512ELi1ELb0EfiifffEEv20rocsparse_operation_S1_16rocsparse_order_S2_T4_S3_S3_T3_NS_24const_host_device_scalarIT2_EEPKT5_lPKT6_lS7_PT7_PKS4_SH_21rocsparse_index_base_b ; -- Begin function _ZN9rocsparseL17sddmm_coox_kernelILi512ELi1ELb0EfiifffEEv20rocsparse_operation_S1_16rocsparse_order_S2_T4_S3_S3_T3_NS_24const_host_device_scalarIT2_EEPKT5_lPKT6_lS7_PT7_PKS4_SH_21rocsparse_index_base_b
	.p2align	8
	.type	_ZN9rocsparseL17sddmm_coox_kernelILi512ELi1ELb0EfiifffEEv20rocsparse_operation_S1_16rocsparse_order_S2_T4_S3_S3_T3_NS_24const_host_device_scalarIT2_EEPKT5_lPKT6_lS7_PT7_PKS4_SH_21rocsparse_index_base_b,@function
_ZN9rocsparseL17sddmm_coox_kernelILi512ELi1ELb0EfiifffEEv20rocsparse_operation_S1_16rocsparse_order_S2_T4_S3_S3_T3_NS_24const_host_device_scalarIT2_EEPKT5_lPKT6_lS7_PT7_PKS4_SH_21rocsparse_index_base_b: ; @_ZN9rocsparseL17sddmm_coox_kernelILi512ELi1ELb0EfiifffEEv20rocsparse_operation_S1_16rocsparse_order_S2_T4_S3_S3_T3_NS_24const_host_device_scalarIT2_EEPKT5_lPKT6_lS7_PT7_PKS4_SH_21rocsparse_index_base_b
; %bb.0:
	s_clause 0x2
	s_load_dwordx2 s[16:17], s[4:5], 0x68
	s_load_dwordx2 s[12:13], s[4:5], 0x20
	s_load_dwordx4 s[0:3], s[4:5], 0x40
	s_waitcnt lgkmcnt(0)
	s_bitcmp1_b32 s17, 0
	s_cselect_b32 s7, -1, 0
	s_and_b32 vcc_lo, exec_lo, s7
	s_xor_b32 s7, s7, -1
	s_cbranch_vccnz .LBB9_2
; %bb.1:
	s_load_dword s12, s[12:13], 0x0
.LBB9_2:
	s_andn2_b32 vcc_lo, exec_lo, s7
	s_cbranch_vccnz .LBB9_4
; %bb.3:
	s_load_dword s2, s[2:3], 0x0
.LBB9_4:
	s_waitcnt lgkmcnt(0)
	v_cmp_eq_f32_e64 s3, s12, 0
	v_cmp_eq_f32_e64 s7, s2, 1.0
	s_and_b32 s3, s3, s7
	s_and_b32 vcc_lo, exec_lo, s3
	s_cbranch_vccnz .LBB9_27
; %bb.5:
	s_load_dwordx2 s[14:15], s[4:5], 0x18
	v_lshl_or_b32 v1, s6, 9, v0
	s_mov_b32 s3, exec_lo
	s_waitcnt lgkmcnt(0)
	v_cmpx_gt_i32_e64 s15, v1
	s_cbranch_execz .LBB9_27
; %bb.6:
	s_load_dwordx4 s[8:11], s[4:5], 0x58
	v_ashrrev_i32_e32 v2, 31, v1
	v_lshlrev_b64 v[1:2], 2, v[1:2]
	s_waitcnt lgkmcnt(0)
	v_add_co_u32 v3, vcc_lo, s8, v1
	v_add_co_ci_u32_e64 v4, null, s9, v2, vcc_lo
	global_load_dword v5, v[3:4], off
	v_add_co_u32 v3, vcc_lo, s10, v1
	v_add_co_ci_u32_e64 v4, null, s11, v2, vcc_lo
	global_load_dword v7, v[3:4], off
	s_clause 0x1
	s_load_dwordx4 s[8:11], s[4:5], 0x0
	s_load_dwordx2 s[6:7], s[4:5], 0x30
	s_waitcnt lgkmcnt(0)
	s_cmp_eq_u32 s10, 1
	s_cselect_b32 s3, -1, 0
	s_cmpk_eq_i32 s8, 0x6f
	s_cselect_b32 s13, -1, 0
	s_cmpk_lg_i32 s8, 0x6f
	s_cselect_b32 s8, -1, 0
	s_cmp_lg_u32 s10, 1
	s_waitcnt vmcnt(1)
	v_subrev_nc_u32_e32 v5, s16, v5
	v_ashrrev_i32_e32 v6, 31, v5
	s_cbranch_scc0 .LBB9_10
; %bb.7:
	v_mov_b32_e32 v3, v5
	v_mov_b32_e32 v4, v6
	s_andn2_b32 vcc_lo, exec_lo, s13
	s_cbranch_vccnz .LBB9_9
; %bb.8:
	v_mul_lo_u32 v8, s7, v5
	v_mul_lo_u32 v9, s6, v6
	v_mad_u64_u32 v[3:4], null, s6, v5, 0
	v_add3_u32 v4, v4, v9, v8
.LBB9_9:
	s_cbranch_execz .LBB9_11
	s_branch .LBB9_14
.LBB9_10:
                                        ; implicit-def: $vgpr3_vgpr4
.LBB9_11:
	s_andn2_b32 vcc_lo, exec_lo, s8
	s_cbranch_vccnz .LBB9_13
; %bb.12:
	v_mul_lo_u32 v3, s7, v5
	v_mul_lo_u32 v4, s6, v6
	v_mad_u64_u32 v[5:6], null, s6, v5, 0
	v_add3_u32 v6, v6, v4, v3
.LBB9_13:
	v_mov_b32_e32 v3, v5
	v_mov_b32_e32 v4, v6
.LBB9_14:
	s_waitcnt vmcnt(0)
	v_subrev_nc_u32_e32 v5, s16, v7
	s_cmp_eq_u32 s11, 1
	s_cselect_b32 s7, -1, 0
	s_cmpk_eq_i32 s9, 0x6f
	v_ashrrev_i32_e32 v6, 31, v5
	s_cselect_b32 s10, -1, 0
	s_cmpk_lg_i32 s9, 0x6f
	s_cselect_b32 s8, -1, 0
	s_cmp_lg_u32 s11, 1
	s_cbranch_scc0 .LBB9_21
; %bb.15:
	v_mov_b32_e32 v8, v6
	v_mov_b32_e32 v7, v5
	s_andn2_b32 vcc_lo, exec_lo, s8
	s_cbranch_vccnz .LBB9_17
; %bb.16:
	v_mul_lo_u32 v9, s1, v5
	v_mul_lo_u32 v10, s0, v6
	v_mad_u64_u32 v[7:8], null, s0, v5, 0
	v_add3_u32 v8, v8, v10, v9
.LBB9_17:
	s_cbranch_execz .LBB9_22
; %bb.18:
	s_load_dwordx2 s[8:9], s[4:5], 0x50
	s_cmp_lt_i32 s14, 1
	s_cbranch_scc1 .LBB9_25
.LBB9_19:
	s_clause 0x1
	s_load_dwordx2 s[16:17], s[4:5], 0x38
	s_load_dwordx2 s[4:5], s[4:5], 0x28
	v_lshlrev_b64 v[5:6], 2, v[7:8]
	v_lshlrev_b64 v[7:8], 2, v[3:4]
	s_xor_b32 s1, s13, s3
	s_and_b32 s1, s1, exec_lo
	s_cselect_b32 s6, 1, s6
	s_xor_b32 s1, s10, s7
	s_and_b32 s1, s1, exec_lo
	s_cselect_b32 s0, s0, 1
	s_ashr_i32 s7, s6, 31
	s_ashr_i32 s1, s0, 31
	s_lshl_b64 s[0:1], s[0:1], 2
	s_waitcnt lgkmcnt(0)
	v_add_co_u32 v3, vcc_lo, s16, v5
	v_add_co_ci_u32_e64 v4, null, s17, v6, vcc_lo
	v_add_co_u32 v5, vcc_lo, s4, v7
	v_add_co_ci_u32_e64 v6, null, s5, v8, vcc_lo
	v_mov_b32_e32 v7, 0
	s_lshl_b64 s[4:5], s[6:7], 2
	.p2align	6
.LBB9_20:                               ; =>This Inner Loop Header: Depth=1
	global_load_dword v8, v[5:6], off
	global_load_dword v9, v[3:4], off
	v_add_co_u32 v3, vcc_lo, v3, s0
	v_add_co_ci_u32_e64 v4, null, s1, v4, vcc_lo
	v_add_co_u32 v5, vcc_lo, v5, s4
	v_add_co_ci_u32_e64 v6, null, s5, v6, vcc_lo
	s_add_i32 s14, s14, -1
	s_cmp_eq_u32 s14, 0
	s_waitcnt vmcnt(0)
	v_fmac_f32_e32 v7, v8, v9
	s_cbranch_scc0 .LBB9_20
	s_branch .LBB9_26
.LBB9_21:
                                        ; implicit-def: $vgpr7_vgpr8
.LBB9_22:
	s_andn2_b32 vcc_lo, exec_lo, s10
	s_cbranch_vccnz .LBB9_24
; %bb.23:
	v_mul_lo_u32 v7, s1, v5
	v_mul_lo_u32 v8, s0, v6
	v_mad_u64_u32 v[5:6], null, s0, v5, 0
	v_add3_u32 v6, v6, v8, v7
.LBB9_24:
	v_mov_b32_e32 v8, v6
	v_mov_b32_e32 v7, v5
	s_load_dwordx2 s[8:9], s[4:5], 0x50
	s_cmp_lt_i32 s14, 1
	s_cbranch_scc0 .LBB9_19
.LBB9_25:
	v_mov_b32_e32 v7, 0
.LBB9_26:
	v_lshlrev_b32_e32 v3, 2, v0
	s_waitcnt lgkmcnt(0)
	v_add_co_u32 v0, vcc_lo, s8, v1
	v_add_co_ci_u32_e64 v1, null, s9, v2, vcc_lo
	ds_write_b32 v3, v7
	s_waitcnt lgkmcnt(0)
	s_barrier
	buffer_gl0_inv
	global_load_dword v2, v[0:1], off
	ds_read_b32 v3, v3
	s_waitcnt lgkmcnt(0)
	v_mul_f32_e32 v3, s12, v3
	s_waitcnt vmcnt(0)
	v_fmac_f32_e32 v3, s2, v2
	global_store_dword v[0:1], v3, off
.LBB9_27:
	s_endpgm
	.section	.rodata,"a",@progbits
	.p2align	6, 0x0
	.amdhsa_kernel _ZN9rocsparseL17sddmm_coox_kernelILi512ELi1ELb0EfiifffEEv20rocsparse_operation_S1_16rocsparse_order_S2_T4_S3_S3_T3_NS_24const_host_device_scalarIT2_EEPKT5_lPKT6_lS7_PT7_PKS4_SH_21rocsparse_index_base_b
		.amdhsa_group_segment_fixed_size 2048
		.amdhsa_private_segment_fixed_size 0
		.amdhsa_kernarg_size 112
		.amdhsa_user_sgpr_count 6
		.amdhsa_user_sgpr_private_segment_buffer 1
		.amdhsa_user_sgpr_dispatch_ptr 0
		.amdhsa_user_sgpr_queue_ptr 0
		.amdhsa_user_sgpr_kernarg_segment_ptr 1
		.amdhsa_user_sgpr_dispatch_id 0
		.amdhsa_user_sgpr_flat_scratch_init 0
		.amdhsa_user_sgpr_private_segment_size 0
		.amdhsa_wavefront_size32 1
		.amdhsa_uses_dynamic_stack 0
		.amdhsa_system_sgpr_private_segment_wavefront_offset 0
		.amdhsa_system_sgpr_workgroup_id_x 1
		.amdhsa_system_sgpr_workgroup_id_y 0
		.amdhsa_system_sgpr_workgroup_id_z 0
		.amdhsa_system_sgpr_workgroup_info 0
		.amdhsa_system_vgpr_workitem_id 0
		.amdhsa_next_free_vgpr 11
		.amdhsa_next_free_sgpr 18
		.amdhsa_reserve_vcc 1
		.amdhsa_reserve_flat_scratch 0
		.amdhsa_float_round_mode_32 0
		.amdhsa_float_round_mode_16_64 0
		.amdhsa_float_denorm_mode_32 3
		.amdhsa_float_denorm_mode_16_64 3
		.amdhsa_dx10_clamp 1
		.amdhsa_ieee_mode 1
		.amdhsa_fp16_overflow 0
		.amdhsa_workgroup_processor_mode 1
		.amdhsa_memory_ordered 1
		.amdhsa_forward_progress 1
		.amdhsa_shared_vgpr_count 0
		.amdhsa_exception_fp_ieee_invalid_op 0
		.amdhsa_exception_fp_denorm_src 0
		.amdhsa_exception_fp_ieee_div_zero 0
		.amdhsa_exception_fp_ieee_overflow 0
		.amdhsa_exception_fp_ieee_underflow 0
		.amdhsa_exception_fp_ieee_inexact 0
		.amdhsa_exception_int_div_zero 0
	.end_amdhsa_kernel
	.section	.text._ZN9rocsparseL17sddmm_coox_kernelILi512ELi1ELb0EfiifffEEv20rocsparse_operation_S1_16rocsparse_order_S2_T4_S3_S3_T3_NS_24const_host_device_scalarIT2_EEPKT5_lPKT6_lS7_PT7_PKS4_SH_21rocsparse_index_base_b,"axG",@progbits,_ZN9rocsparseL17sddmm_coox_kernelILi512ELi1ELb0EfiifffEEv20rocsparse_operation_S1_16rocsparse_order_S2_T4_S3_S3_T3_NS_24const_host_device_scalarIT2_EEPKT5_lPKT6_lS7_PT7_PKS4_SH_21rocsparse_index_base_b,comdat
.Lfunc_end9:
	.size	_ZN9rocsparseL17sddmm_coox_kernelILi512ELi1ELb0EfiifffEEv20rocsparse_operation_S1_16rocsparse_order_S2_T4_S3_S3_T3_NS_24const_host_device_scalarIT2_EEPKT5_lPKT6_lS7_PT7_PKS4_SH_21rocsparse_index_base_b, .Lfunc_end9-_ZN9rocsparseL17sddmm_coox_kernelILi512ELi1ELb0EfiifffEEv20rocsparse_operation_S1_16rocsparse_order_S2_T4_S3_S3_T3_NS_24const_host_device_scalarIT2_EEPKT5_lPKT6_lS7_PT7_PKS4_SH_21rocsparse_index_base_b
                                        ; -- End function
	.set _ZN9rocsparseL17sddmm_coox_kernelILi512ELi1ELb0EfiifffEEv20rocsparse_operation_S1_16rocsparse_order_S2_T4_S3_S3_T3_NS_24const_host_device_scalarIT2_EEPKT5_lPKT6_lS7_PT7_PKS4_SH_21rocsparse_index_base_b.num_vgpr, 11
	.set _ZN9rocsparseL17sddmm_coox_kernelILi512ELi1ELb0EfiifffEEv20rocsparse_operation_S1_16rocsparse_order_S2_T4_S3_S3_T3_NS_24const_host_device_scalarIT2_EEPKT5_lPKT6_lS7_PT7_PKS4_SH_21rocsparse_index_base_b.num_agpr, 0
	.set _ZN9rocsparseL17sddmm_coox_kernelILi512ELi1ELb0EfiifffEEv20rocsparse_operation_S1_16rocsparse_order_S2_T4_S3_S3_T3_NS_24const_host_device_scalarIT2_EEPKT5_lPKT6_lS7_PT7_PKS4_SH_21rocsparse_index_base_b.numbered_sgpr, 18
	.set _ZN9rocsparseL17sddmm_coox_kernelILi512ELi1ELb0EfiifffEEv20rocsparse_operation_S1_16rocsparse_order_S2_T4_S3_S3_T3_NS_24const_host_device_scalarIT2_EEPKT5_lPKT6_lS7_PT7_PKS4_SH_21rocsparse_index_base_b.num_named_barrier, 0
	.set _ZN9rocsparseL17sddmm_coox_kernelILi512ELi1ELb0EfiifffEEv20rocsparse_operation_S1_16rocsparse_order_S2_T4_S3_S3_T3_NS_24const_host_device_scalarIT2_EEPKT5_lPKT6_lS7_PT7_PKS4_SH_21rocsparse_index_base_b.private_seg_size, 0
	.set _ZN9rocsparseL17sddmm_coox_kernelILi512ELi1ELb0EfiifffEEv20rocsparse_operation_S1_16rocsparse_order_S2_T4_S3_S3_T3_NS_24const_host_device_scalarIT2_EEPKT5_lPKT6_lS7_PT7_PKS4_SH_21rocsparse_index_base_b.uses_vcc, 1
	.set _ZN9rocsparseL17sddmm_coox_kernelILi512ELi1ELb0EfiifffEEv20rocsparse_operation_S1_16rocsparse_order_S2_T4_S3_S3_T3_NS_24const_host_device_scalarIT2_EEPKT5_lPKT6_lS7_PT7_PKS4_SH_21rocsparse_index_base_b.uses_flat_scratch, 0
	.set _ZN9rocsparseL17sddmm_coox_kernelILi512ELi1ELb0EfiifffEEv20rocsparse_operation_S1_16rocsparse_order_S2_T4_S3_S3_T3_NS_24const_host_device_scalarIT2_EEPKT5_lPKT6_lS7_PT7_PKS4_SH_21rocsparse_index_base_b.has_dyn_sized_stack, 0
	.set _ZN9rocsparseL17sddmm_coox_kernelILi512ELi1ELb0EfiifffEEv20rocsparse_operation_S1_16rocsparse_order_S2_T4_S3_S3_T3_NS_24const_host_device_scalarIT2_EEPKT5_lPKT6_lS7_PT7_PKS4_SH_21rocsparse_index_base_b.has_recursion, 0
	.set _ZN9rocsparseL17sddmm_coox_kernelILi512ELi1ELb0EfiifffEEv20rocsparse_operation_S1_16rocsparse_order_S2_T4_S3_S3_T3_NS_24const_host_device_scalarIT2_EEPKT5_lPKT6_lS7_PT7_PKS4_SH_21rocsparse_index_base_b.has_indirect_call, 0
	.section	.AMDGPU.csdata,"",@progbits
; Kernel info:
; codeLenInByte = 872
; TotalNumSgprs: 20
; NumVgprs: 11
; ScratchSize: 0
; MemoryBound: 0
; FloatMode: 240
; IeeeMode: 1
; LDSByteSize: 2048 bytes/workgroup (compile time only)
; SGPRBlocks: 0
; VGPRBlocks: 1
; NumSGPRsForWavesPerEU: 20
; NumVGPRsForWavesPerEU: 11
; Occupancy: 16
; WaveLimiterHint : 0
; COMPUTE_PGM_RSRC2:SCRATCH_EN: 0
; COMPUTE_PGM_RSRC2:USER_SGPR: 6
; COMPUTE_PGM_RSRC2:TRAP_HANDLER: 0
; COMPUTE_PGM_RSRC2:TGID_X_EN: 1
; COMPUTE_PGM_RSRC2:TGID_Y_EN: 0
; COMPUTE_PGM_RSRC2:TGID_Z_EN: 0
; COMPUTE_PGM_RSRC2:TIDIG_COMP_CNT: 0
	.section	.text._ZN9rocsparseL24sddmm_coox_sample_kernelILi512ELb0EdiidEEvT3_S1_T2_PKT4_S1_PS3_PKS2_S8_21rocsparse_index_base_,"axG",@progbits,_ZN9rocsparseL24sddmm_coox_sample_kernelILi512ELb0EdiidEEvT3_S1_T2_PKT4_S1_PS3_PKS2_S8_21rocsparse_index_base_,comdat
	.globl	_ZN9rocsparseL24sddmm_coox_sample_kernelILi512ELb0EdiidEEvT3_S1_T2_PKT4_S1_PS3_PKS2_S8_21rocsparse_index_base_ ; -- Begin function _ZN9rocsparseL24sddmm_coox_sample_kernelILi512ELb0EdiidEEvT3_S1_T2_PKT4_S1_PS3_PKS2_S8_21rocsparse_index_base_
	.p2align	8
	.type	_ZN9rocsparseL24sddmm_coox_sample_kernelILi512ELb0EdiidEEvT3_S1_T2_PKT4_S1_PS3_PKS2_S8_21rocsparse_index_base_,@function
_ZN9rocsparseL24sddmm_coox_sample_kernelILi512ELb0EdiidEEvT3_S1_T2_PKT4_S1_PS3_PKS2_S8_21rocsparse_index_base_: ; @_ZN9rocsparseL24sddmm_coox_sample_kernelILi512ELb0EdiidEEvT3_S1_T2_PKT4_S1_PS3_PKS2_S8_21rocsparse_index_base_
; %bb.0:
	s_load_dword s1, s[4:5], 0x8
	v_lshl_or_b32 v0, s6, 9, v0
	s_mov_b32 s0, exec_lo
	s_waitcnt lgkmcnt(0)
	v_cmpx_gt_u32_e64 s1, v0
	s_cbranch_execz .LBB10_3
; %bb.1:
	s_clause 0x5
	s_load_dword s12, s[4:5], 0x38
	s_load_dword s0, s[4:5], 0x40
	s_load_dwordx4 s[8:11], s[4:5], 0x20
	s_load_dwordx2 s[2:3], s[4:5], 0x30
	s_load_dwordx2 s[6:7], s[4:5], 0x10
	s_load_dword s4, s[4:5], 0x18
	v_mov_b32_e32 v1, 0
	s_mov_b32 s13, 0
	s_waitcnt lgkmcnt(0)
	s_lshl_b32 s5, s0, 9
	s_inst_prefetch 0x1
	.p2align	6
.LBB10_2:                               ; =>This Inner Loop Header: Depth=1
	v_lshlrev_b64 v[2:3], 2, v[0:1]
	v_add_co_u32 v4, vcc_lo, s10, v2
	v_add_co_ci_u32_e64 v5, null, s11, v3, vcc_lo
	v_add_co_u32 v2, vcc_lo, s2, v2
	v_add_co_ci_u32_e64 v3, null, s3, v3, vcc_lo
	global_load_dword v4, v[4:5], off
	global_load_dword v3, v[2:3], off
	s_waitcnt vmcnt(1)
	v_subrev_nc_u32_e32 v2, s12, v4
	s_waitcnt vmcnt(0)
	v_subrev_nc_u32_e32 v3, s12, v3
	v_lshlrev_b64 v[4:5], 3, v[0:1]
	v_add_nc_u32_e32 v0, s5, v0
	v_mad_u64_u32 v[2:3], null, v3, s4, v[2:3]
	v_add_co_u32 v4, s0, s8, v4
	v_add_co_ci_u32_e64 v5, null, s9, v5, s0
	v_ashrrev_i32_e32 v3, 31, v2
	v_lshlrev_b64 v[2:3], 3, v[2:3]
	v_add_co_u32 v2, vcc_lo, s6, v2
	v_add_co_ci_u32_e64 v3, null, s7, v3, vcc_lo
	v_cmp_le_u32_e32 vcc_lo, s1, v0
	global_load_dwordx2 v[2:3], v[2:3], off
	s_or_b32 s13, vcc_lo, s13
	s_waitcnt vmcnt(0)
	global_store_dwordx2 v[4:5], v[2:3], off
	s_andn2_b32 exec_lo, exec_lo, s13
	s_cbranch_execnz .LBB10_2
.LBB10_3:
	s_inst_prefetch 0x2
	s_endpgm
	.section	.rodata,"a",@progbits
	.p2align	6, 0x0
	.amdhsa_kernel _ZN9rocsparseL24sddmm_coox_sample_kernelILi512ELb0EdiidEEvT3_S1_T2_PKT4_S1_PS3_PKS2_S8_21rocsparse_index_base_
		.amdhsa_group_segment_fixed_size 0
		.amdhsa_private_segment_fixed_size 0
		.amdhsa_kernarg_size 320
		.amdhsa_user_sgpr_count 6
		.amdhsa_user_sgpr_private_segment_buffer 1
		.amdhsa_user_sgpr_dispatch_ptr 0
		.amdhsa_user_sgpr_queue_ptr 0
		.amdhsa_user_sgpr_kernarg_segment_ptr 1
		.amdhsa_user_sgpr_dispatch_id 0
		.amdhsa_user_sgpr_flat_scratch_init 0
		.amdhsa_user_sgpr_private_segment_size 0
		.amdhsa_wavefront_size32 1
		.amdhsa_uses_dynamic_stack 0
		.amdhsa_system_sgpr_private_segment_wavefront_offset 0
		.amdhsa_system_sgpr_workgroup_id_x 1
		.amdhsa_system_sgpr_workgroup_id_y 0
		.amdhsa_system_sgpr_workgroup_id_z 0
		.amdhsa_system_sgpr_workgroup_info 0
		.amdhsa_system_vgpr_workitem_id 0
		.amdhsa_next_free_vgpr 6
		.amdhsa_next_free_sgpr 14
		.amdhsa_reserve_vcc 1
		.amdhsa_reserve_flat_scratch 0
		.amdhsa_float_round_mode_32 0
		.amdhsa_float_round_mode_16_64 0
		.amdhsa_float_denorm_mode_32 3
		.amdhsa_float_denorm_mode_16_64 3
		.amdhsa_dx10_clamp 1
		.amdhsa_ieee_mode 1
		.amdhsa_fp16_overflow 0
		.amdhsa_workgroup_processor_mode 1
		.amdhsa_memory_ordered 1
		.amdhsa_forward_progress 1
		.amdhsa_shared_vgpr_count 0
		.amdhsa_exception_fp_ieee_invalid_op 0
		.amdhsa_exception_fp_denorm_src 0
		.amdhsa_exception_fp_ieee_div_zero 0
		.amdhsa_exception_fp_ieee_overflow 0
		.amdhsa_exception_fp_ieee_underflow 0
		.amdhsa_exception_fp_ieee_inexact 0
		.amdhsa_exception_int_div_zero 0
	.end_amdhsa_kernel
	.section	.text._ZN9rocsparseL24sddmm_coox_sample_kernelILi512ELb0EdiidEEvT3_S1_T2_PKT4_S1_PS3_PKS2_S8_21rocsparse_index_base_,"axG",@progbits,_ZN9rocsparseL24sddmm_coox_sample_kernelILi512ELb0EdiidEEvT3_S1_T2_PKT4_S1_PS3_PKS2_S8_21rocsparse_index_base_,comdat
.Lfunc_end10:
	.size	_ZN9rocsparseL24sddmm_coox_sample_kernelILi512ELb0EdiidEEvT3_S1_T2_PKT4_S1_PS3_PKS2_S8_21rocsparse_index_base_, .Lfunc_end10-_ZN9rocsparseL24sddmm_coox_sample_kernelILi512ELb0EdiidEEvT3_S1_T2_PKT4_S1_PS3_PKS2_S8_21rocsparse_index_base_
                                        ; -- End function
	.set _ZN9rocsparseL24sddmm_coox_sample_kernelILi512ELb0EdiidEEvT3_S1_T2_PKT4_S1_PS3_PKS2_S8_21rocsparse_index_base_.num_vgpr, 6
	.set _ZN9rocsparseL24sddmm_coox_sample_kernelILi512ELb0EdiidEEvT3_S1_T2_PKT4_S1_PS3_PKS2_S8_21rocsparse_index_base_.num_agpr, 0
	.set _ZN9rocsparseL24sddmm_coox_sample_kernelILi512ELb0EdiidEEvT3_S1_T2_PKT4_S1_PS3_PKS2_S8_21rocsparse_index_base_.numbered_sgpr, 14
	.set _ZN9rocsparseL24sddmm_coox_sample_kernelILi512ELb0EdiidEEvT3_S1_T2_PKT4_S1_PS3_PKS2_S8_21rocsparse_index_base_.num_named_barrier, 0
	.set _ZN9rocsparseL24sddmm_coox_sample_kernelILi512ELb0EdiidEEvT3_S1_T2_PKT4_S1_PS3_PKS2_S8_21rocsparse_index_base_.private_seg_size, 0
	.set _ZN9rocsparseL24sddmm_coox_sample_kernelILi512ELb0EdiidEEvT3_S1_T2_PKT4_S1_PS3_PKS2_S8_21rocsparse_index_base_.uses_vcc, 1
	.set _ZN9rocsparseL24sddmm_coox_sample_kernelILi512ELb0EdiidEEvT3_S1_T2_PKT4_S1_PS3_PKS2_S8_21rocsparse_index_base_.uses_flat_scratch, 0
	.set _ZN9rocsparseL24sddmm_coox_sample_kernelILi512ELb0EdiidEEvT3_S1_T2_PKT4_S1_PS3_PKS2_S8_21rocsparse_index_base_.has_dyn_sized_stack, 0
	.set _ZN9rocsparseL24sddmm_coox_sample_kernelILi512ELb0EdiidEEvT3_S1_T2_PKT4_S1_PS3_PKS2_S8_21rocsparse_index_base_.has_recursion, 0
	.set _ZN9rocsparseL24sddmm_coox_sample_kernelILi512ELb0EdiidEEvT3_S1_T2_PKT4_S1_PS3_PKS2_S8_21rocsparse_index_base_.has_indirect_call, 0
	.section	.AMDGPU.csdata,"",@progbits
; Kernel info:
; codeLenInByte = 308
; TotalNumSgprs: 16
; NumVgprs: 6
; ScratchSize: 0
; MemoryBound: 0
; FloatMode: 240
; IeeeMode: 1
; LDSByteSize: 0 bytes/workgroup (compile time only)
; SGPRBlocks: 0
; VGPRBlocks: 0
; NumSGPRsForWavesPerEU: 16
; NumVGPRsForWavesPerEU: 6
; Occupancy: 16
; WaveLimiterHint : 1
; COMPUTE_PGM_RSRC2:SCRATCH_EN: 0
; COMPUTE_PGM_RSRC2:USER_SGPR: 6
; COMPUTE_PGM_RSRC2:TRAP_HANDLER: 0
; COMPUTE_PGM_RSRC2:TGID_X_EN: 1
; COMPUTE_PGM_RSRC2:TGID_Y_EN: 0
; COMPUTE_PGM_RSRC2:TGID_Z_EN: 0
; COMPUTE_PGM_RSRC2:TIDIG_COMP_CNT: 0
	.section	.text._ZN9rocsparseL17sddmm_coox_kernelILi512ELi8ELb0EdiidddEEv20rocsparse_operation_S1_16rocsparse_order_S2_T4_S3_S3_T3_NS_24const_host_device_scalarIT2_EEPKT5_lPKT6_lS7_PT7_PKS4_SH_21rocsparse_index_base_b,"axG",@progbits,_ZN9rocsparseL17sddmm_coox_kernelILi512ELi8ELb0EdiidddEEv20rocsparse_operation_S1_16rocsparse_order_S2_T4_S3_S3_T3_NS_24const_host_device_scalarIT2_EEPKT5_lPKT6_lS7_PT7_PKS4_SH_21rocsparse_index_base_b,comdat
	.globl	_ZN9rocsparseL17sddmm_coox_kernelILi512ELi8ELb0EdiidddEEv20rocsparse_operation_S1_16rocsparse_order_S2_T4_S3_S3_T3_NS_24const_host_device_scalarIT2_EEPKT5_lPKT6_lS7_PT7_PKS4_SH_21rocsparse_index_base_b ; -- Begin function _ZN9rocsparseL17sddmm_coox_kernelILi512ELi8ELb0EdiidddEEv20rocsparse_operation_S1_16rocsparse_order_S2_T4_S3_S3_T3_NS_24const_host_device_scalarIT2_EEPKT5_lPKT6_lS7_PT7_PKS4_SH_21rocsparse_index_base_b
	.p2align	8
	.type	_ZN9rocsparseL17sddmm_coox_kernelILi512ELi8ELb0EdiidddEEv20rocsparse_operation_S1_16rocsparse_order_S2_T4_S3_S3_T3_NS_24const_host_device_scalarIT2_EEPKT5_lPKT6_lS7_PT7_PKS4_SH_21rocsparse_index_base_b,@function
_ZN9rocsparseL17sddmm_coox_kernelILi512ELi8ELb0EdiidddEEv20rocsparse_operation_S1_16rocsparse_order_S2_T4_S3_S3_T3_NS_24const_host_device_scalarIT2_EEPKT5_lPKT6_lS7_PT7_PKS4_SH_21rocsparse_index_base_b: ; @_ZN9rocsparseL17sddmm_coox_kernelILi512ELi8ELb0EdiidddEEv20rocsparse_operation_S1_16rocsparse_order_S2_T4_S3_S3_T3_NS_24const_host_device_scalarIT2_EEPKT5_lPKT6_lS7_PT7_PKS4_SH_21rocsparse_index_base_b
; %bb.0:
	s_clause 0x2
	s_load_dwordx2 s[12:13], s[4:5], 0x68
	s_load_dwordx2 s[0:1], s[4:5], 0x20
	s_load_dwordx4 s[8:11], s[4:5], 0x40
	s_waitcnt lgkmcnt(0)
	s_bitcmp1_b32 s13, 0
	v_mov_b32_e32 v2, s1
	v_mov_b32_e32 v1, s0
	s_cselect_b32 s2, -1, 0
	s_and_b32 vcc_lo, exec_lo, s2
	s_xor_b32 s2, s2, -1
	s_cbranch_vccnz .LBB11_2
; %bb.1:
	v_mov_b32_e32 v2, s1
	v_mov_b32_e32 v1, s0
	flat_load_dwordx2 v[1:2], v[1:2]
.LBB11_2:
	v_mov_b32_e32 v3, s10
	v_mov_b32_e32 v4, s11
	s_andn2_b32 vcc_lo, exec_lo, s2
	s_cbranch_vccnz .LBB11_4
; %bb.3:
	v_mov_b32_e32 v3, s10
	v_mov_b32_e32 v4, s11
	flat_load_dwordx2 v[3:4], v[3:4]
.LBB11_4:
	s_waitcnt vmcnt(0) lgkmcnt(0)
	v_cmp_neq_f64_e32 vcc_lo, 0, v[1:2]
	v_cmp_neq_f64_e64 s0, 1.0, v[3:4]
	s_or_b32 s0, vcc_lo, s0
	s_and_saveexec_b32 s1, s0
	s_cbranch_execz .LBB11_34
; %bb.5:
	s_load_dwordx2 s[10:11], s[4:5], 0x18
	v_lshrrev_b32_e32 v13, 3, v0
	v_lshl_or_b32 v5, s6, 6, v13
	s_waitcnt lgkmcnt(0)
	v_cmp_gt_i32_e32 vcc_lo, s11, v5
	s_and_b32 exec_lo, exec_lo, vcc_lo
	s_cbranch_execz .LBB11_34
; %bb.6:
	s_load_dwordx4 s[0:3], s[4:5], 0x58
	v_ashrrev_i32_e32 v6, 31, v5
	v_lshlrev_b64 v[7:8], 2, v[5:6]
	s_waitcnt lgkmcnt(0)
	v_add_co_u32 v9, vcc_lo, s0, v7
	v_add_co_ci_u32_e64 v10, null, s1, v8, vcc_lo
	v_add_co_u32 v7, vcc_lo, s2, v7
	v_add_co_ci_u32_e64 v8, null, s3, v8, vcc_lo
	global_load_dword v9, v[9:10], off
	global_load_dword v11, v[7:8], off
	s_clause 0x1
	s_load_dwordx4 s[0:3], s[4:5], 0x0
	s_load_dwordx2 s[6:7], s[4:5], 0x30
	s_waitcnt lgkmcnt(0)
	s_cmp_eq_u32 s2, 1
	s_cselect_b32 s11, -1, 0
	s_cmpk_eq_i32 s0, 0x6f
	s_cselect_b32 s13, -1, 0
	s_cmpk_lg_i32 s0, 0x6f
	s_cselect_b32 s0, -1, 0
	s_cmp_lg_u32 s2, 1
	s_waitcnt vmcnt(1)
	v_subrev_nc_u32_e32 v9, s12, v9
	v_ashrrev_i32_e32 v10, 31, v9
	s_cbranch_scc0 .LBB11_10
; %bb.7:
	v_mov_b32_e32 v7, v9
	v_mov_b32_e32 v8, v10
	s_andn2_b32 vcc_lo, exec_lo, s13
	s_cbranch_vccnz .LBB11_9
; %bb.8:
	v_mul_lo_u32 v12, s7, v9
	v_mul_lo_u32 v14, s6, v10
	v_mad_u64_u32 v[7:8], null, s6, v9, 0
	v_add3_u32 v8, v8, v14, v12
.LBB11_9:
	s_cbranch_execz .LBB11_11
	s_branch .LBB11_14
.LBB11_10:
                                        ; implicit-def: $vgpr7_vgpr8
.LBB11_11:
	s_andn2_b32 vcc_lo, exec_lo, s0
	s_cbranch_vccnz .LBB11_13
; %bb.12:
	v_mul_lo_u32 v7, s7, v9
	v_mul_lo_u32 v8, s6, v10
	v_mad_u64_u32 v[9:10], null, s6, v9, 0
	v_add3_u32 v10, v10, v8, v7
.LBB11_13:
	v_mov_b32_e32 v7, v9
	v_mov_b32_e32 v8, v10
.LBB11_14:
	s_waitcnt vmcnt(0)
	v_subrev_nc_u32_e32 v9, s12, v11
	s_cmp_eq_u32 s3, 1
	s_cselect_b32 s2, -1, 0
	s_cmpk_eq_i32 s1, 0x6f
	v_ashrrev_i32_e32 v10, 31, v9
	s_cselect_b32 s7, -1, 0
	s_cmpk_lg_i32 s1, 0x6f
	s_cselect_b32 s0, -1, 0
	s_cmp_lg_u32 s3, 1
	s_cbranch_scc0 .LBB11_18
; %bb.15:
	v_mov_b32_e32 v12, v10
	v_mov_b32_e32 v11, v9
	s_andn2_b32 vcc_lo, exec_lo, s0
	s_cbranch_vccnz .LBB11_17
; %bb.16:
	v_mul_lo_u32 v14, s9, v9
	v_mul_lo_u32 v15, s8, v10
	v_mad_u64_u32 v[11:12], null, s8, v9, 0
	v_add3_u32 v12, v12, v15, v14
.LBB11_17:
	s_cbranch_execz .LBB11_19
	s_branch .LBB11_22
.LBB11_18:
                                        ; implicit-def: $vgpr11_vgpr12
.LBB11_19:
	s_andn2_b32 vcc_lo, exec_lo, s7
	s_cbranch_vccnz .LBB11_21
; %bb.20:
	v_mul_lo_u32 v11, s9, v9
	v_mul_lo_u32 v12, s8, v10
	v_mad_u64_u32 v[9:10], null, s8, v9, 0
	v_add3_u32 v10, v10, v12, v11
.LBB11_21:
	v_mov_b32_e32 v12, v10
	v_mov_b32_e32 v11, v9
.LBB11_22:
	s_load_dwordx2 s[0:1], s[4:5], 0x50
	v_mov_b32_e32 v9, 0
	v_and_b32_e32 v0, 7, v0
	v_mov_b32_e32 v10, 0
	s_mov_b32 s3, exec_lo
	v_cmpx_gt_i32_e64 s10, v0
	s_cbranch_execz .LBB11_26
; %bb.23:
	s_clause 0x1
	s_load_dwordx2 s[14:15], s[4:5], 0x38
	s_load_dwordx2 s[4:5], s[4:5], 0x28
	s_xor_b32 s9, s13, s11
	v_lshlrev_b64 v[14:15], 3, v[11:12]
	s_and_b32 s9, s9, exec_lo
	v_lshlrev_b64 v[16:17], 3, v[7:8]
	s_cselect_b32 s6, 1, s6
	s_xor_b32 s2, s7, s2
	v_mul_lo_u32 v7, s6, v0
	s_and_b32 s2, s2, exec_lo
	s_cselect_b32 s2, s8, 1
	v_mov_b32_e32 v9, 0
	v_mul_lo_u32 v11, s2, v0
	v_mov_b32_e32 v10, 0
	v_mov_b32_e32 v18, v0
	s_lshl_b32 s2, s2, 3
	s_waitcnt lgkmcnt(0)
	v_add_co_u32 v14, vcc_lo, s14, v14
	v_add_co_ci_u32_e64 v15, null, s15, v15, vcc_lo
	v_add_co_u32 v16, vcc_lo, s4, v16
	v_add_co_ci_u32_e64 v17, null, s5, v17, vcc_lo
	s_lshl_b32 s5, s6, 3
	s_mov_b32 s4, 0
	.p2align	6
.LBB11_24:                              ; =>This Inner Loop Header: Depth=1
	v_ashrrev_i32_e32 v8, 31, v7
	v_ashrrev_i32_e32 v12, 31, v11
	v_add_nc_u32_e32 v18, 8, v18
	v_lshlrev_b64 v[19:20], 3, v[7:8]
	v_lshlrev_b64 v[21:22], 3, v[11:12]
	v_add_nc_u32_e32 v11, s2, v11
	v_add_nc_u32_e32 v7, s5, v7
	v_add_co_u32 v19, vcc_lo, v16, v19
	v_add_co_ci_u32_e64 v20, null, v17, v20, vcc_lo
	v_add_co_u32 v21, vcc_lo, v14, v21
	v_add_co_ci_u32_e64 v22, null, v15, v22, vcc_lo
	global_load_dwordx2 v[19:20], v[19:20], off
	global_load_dwordx2 v[21:22], v[21:22], off
	v_cmp_le_i32_e32 vcc_lo, s10, v18
	s_or_b32 s4, vcc_lo, s4
	s_waitcnt vmcnt(0)
	v_fma_f64 v[9:10], v[19:20], v[21:22], v[9:10]
	s_andn2_b32 exec_lo, exec_lo, s4
	s_cbranch_execnz .LBB11_24
; %bb.25:
	s_or_b32 exec_lo, exec_lo, s4
.LBB11_26:
	s_or_b32 exec_lo, exec_lo, s3
	v_lshlrev_b32_e32 v7, 6, v13
	s_mov_b32 s2, exec_lo
	v_lshl_or_b32 v8, v0, 3, v7
	ds_write_b64 v8, v[9:10]
	s_waitcnt lgkmcnt(0)
	s_barrier
	buffer_gl0_inv
	v_cmpx_gt_u32_e32 4, v0
	s_cbranch_execz .LBB11_28
; %bb.27:
	ds_read2_b64 v[9:12], v8 offset1:4
	s_waitcnt lgkmcnt(0)
	v_add_f64 v[9:10], v[11:12], v[9:10]
	ds_write_b64 v8, v[9:10]
.LBB11_28:
	s_or_b32 exec_lo, exec_lo, s2
	s_mov_b32 s2, exec_lo
	s_waitcnt lgkmcnt(0)
	s_barrier
	buffer_gl0_inv
	v_cmpx_gt_u32_e32 2, v0
	s_cbranch_execz .LBB11_30
; %bb.29:
	ds_read2_b64 v[9:12], v8 offset1:2
	s_waitcnt lgkmcnt(0)
	v_add_f64 v[9:10], v[11:12], v[9:10]
	ds_write_b64 v8, v[9:10]
.LBB11_30:
	s_or_b32 exec_lo, exec_lo, s2
	v_cmp_eq_u32_e32 vcc_lo, 0, v0
	s_waitcnt lgkmcnt(0)
	s_barrier
	buffer_gl0_inv
	s_and_saveexec_b32 s2, vcc_lo
	s_cbranch_execz .LBB11_32
; %bb.31:
	ds_read2_b64 v[9:12], v8 offset1:1
	s_waitcnt lgkmcnt(0)
	v_add_f64 v[9:10], v[11:12], v[9:10]
	ds_write_b64 v8, v[9:10]
.LBB11_32:
	s_or_b32 exec_lo, exec_lo, s2
	s_waitcnt lgkmcnt(0)
	s_barrier
	buffer_gl0_inv
	s_and_b32 exec_lo, exec_lo, vcc_lo
	s_cbranch_execz .LBB11_34
; %bb.33:
	v_lshlrev_b64 v[5:6], 3, v[5:6]
	ds_read_b64 v[10:11], v7
	v_add_co_u32 v5, vcc_lo, s0, v5
	v_add_co_ci_u32_e64 v6, null, s1, v6, vcc_lo
	global_load_dwordx2 v[8:9], v[5:6], off
	s_waitcnt lgkmcnt(0)
	v_mul_f64 v[0:1], v[1:2], v[10:11]
	s_waitcnt vmcnt(0)
	v_fma_f64 v[0:1], v[3:4], v[8:9], v[0:1]
	global_store_dwordx2 v[5:6], v[0:1], off
.LBB11_34:
	s_endpgm
	.section	.rodata,"a",@progbits
	.p2align	6, 0x0
	.amdhsa_kernel _ZN9rocsparseL17sddmm_coox_kernelILi512ELi8ELb0EdiidddEEv20rocsparse_operation_S1_16rocsparse_order_S2_T4_S3_S3_T3_NS_24const_host_device_scalarIT2_EEPKT5_lPKT6_lS7_PT7_PKS4_SH_21rocsparse_index_base_b
		.amdhsa_group_segment_fixed_size 4096
		.amdhsa_private_segment_fixed_size 0
		.amdhsa_kernarg_size 112
		.amdhsa_user_sgpr_count 6
		.amdhsa_user_sgpr_private_segment_buffer 1
		.amdhsa_user_sgpr_dispatch_ptr 0
		.amdhsa_user_sgpr_queue_ptr 0
		.amdhsa_user_sgpr_kernarg_segment_ptr 1
		.amdhsa_user_sgpr_dispatch_id 0
		.amdhsa_user_sgpr_flat_scratch_init 0
		.amdhsa_user_sgpr_private_segment_size 0
		.amdhsa_wavefront_size32 1
		.amdhsa_uses_dynamic_stack 0
		.amdhsa_system_sgpr_private_segment_wavefront_offset 0
		.amdhsa_system_sgpr_workgroup_id_x 1
		.amdhsa_system_sgpr_workgroup_id_y 0
		.amdhsa_system_sgpr_workgroup_id_z 0
		.amdhsa_system_sgpr_workgroup_info 0
		.amdhsa_system_vgpr_workitem_id 0
		.amdhsa_next_free_vgpr 23
		.amdhsa_next_free_sgpr 16
		.amdhsa_reserve_vcc 1
		.amdhsa_reserve_flat_scratch 0
		.amdhsa_float_round_mode_32 0
		.amdhsa_float_round_mode_16_64 0
		.amdhsa_float_denorm_mode_32 3
		.amdhsa_float_denorm_mode_16_64 3
		.amdhsa_dx10_clamp 1
		.amdhsa_ieee_mode 1
		.amdhsa_fp16_overflow 0
		.amdhsa_workgroup_processor_mode 1
		.amdhsa_memory_ordered 1
		.amdhsa_forward_progress 1
		.amdhsa_shared_vgpr_count 0
		.amdhsa_exception_fp_ieee_invalid_op 0
		.amdhsa_exception_fp_denorm_src 0
		.amdhsa_exception_fp_ieee_div_zero 0
		.amdhsa_exception_fp_ieee_overflow 0
		.amdhsa_exception_fp_ieee_underflow 0
		.amdhsa_exception_fp_ieee_inexact 0
		.amdhsa_exception_int_div_zero 0
	.end_amdhsa_kernel
	.section	.text._ZN9rocsparseL17sddmm_coox_kernelILi512ELi8ELb0EdiidddEEv20rocsparse_operation_S1_16rocsparse_order_S2_T4_S3_S3_T3_NS_24const_host_device_scalarIT2_EEPKT5_lPKT6_lS7_PT7_PKS4_SH_21rocsparse_index_base_b,"axG",@progbits,_ZN9rocsparseL17sddmm_coox_kernelILi512ELi8ELb0EdiidddEEv20rocsparse_operation_S1_16rocsparse_order_S2_T4_S3_S3_T3_NS_24const_host_device_scalarIT2_EEPKT5_lPKT6_lS7_PT7_PKS4_SH_21rocsparse_index_base_b,comdat
.Lfunc_end11:
	.size	_ZN9rocsparseL17sddmm_coox_kernelILi512ELi8ELb0EdiidddEEv20rocsparse_operation_S1_16rocsparse_order_S2_T4_S3_S3_T3_NS_24const_host_device_scalarIT2_EEPKT5_lPKT6_lS7_PT7_PKS4_SH_21rocsparse_index_base_b, .Lfunc_end11-_ZN9rocsparseL17sddmm_coox_kernelILi512ELi8ELb0EdiidddEEv20rocsparse_operation_S1_16rocsparse_order_S2_T4_S3_S3_T3_NS_24const_host_device_scalarIT2_EEPKT5_lPKT6_lS7_PT7_PKS4_SH_21rocsparse_index_base_b
                                        ; -- End function
	.set _ZN9rocsparseL17sddmm_coox_kernelILi512ELi8ELb0EdiidddEEv20rocsparse_operation_S1_16rocsparse_order_S2_T4_S3_S3_T3_NS_24const_host_device_scalarIT2_EEPKT5_lPKT6_lS7_PT7_PKS4_SH_21rocsparse_index_base_b.num_vgpr, 23
	.set _ZN9rocsparseL17sddmm_coox_kernelILi512ELi8ELb0EdiidddEEv20rocsparse_operation_S1_16rocsparse_order_S2_T4_S3_S3_T3_NS_24const_host_device_scalarIT2_EEPKT5_lPKT6_lS7_PT7_PKS4_SH_21rocsparse_index_base_b.num_agpr, 0
	.set _ZN9rocsparseL17sddmm_coox_kernelILi512ELi8ELb0EdiidddEEv20rocsparse_operation_S1_16rocsparse_order_S2_T4_S3_S3_T3_NS_24const_host_device_scalarIT2_EEPKT5_lPKT6_lS7_PT7_PKS4_SH_21rocsparse_index_base_b.numbered_sgpr, 16
	.set _ZN9rocsparseL17sddmm_coox_kernelILi512ELi8ELb0EdiidddEEv20rocsparse_operation_S1_16rocsparse_order_S2_T4_S3_S3_T3_NS_24const_host_device_scalarIT2_EEPKT5_lPKT6_lS7_PT7_PKS4_SH_21rocsparse_index_base_b.num_named_barrier, 0
	.set _ZN9rocsparseL17sddmm_coox_kernelILi512ELi8ELb0EdiidddEEv20rocsparse_operation_S1_16rocsparse_order_S2_T4_S3_S3_T3_NS_24const_host_device_scalarIT2_EEPKT5_lPKT6_lS7_PT7_PKS4_SH_21rocsparse_index_base_b.private_seg_size, 0
	.set _ZN9rocsparseL17sddmm_coox_kernelILi512ELi8ELb0EdiidddEEv20rocsparse_operation_S1_16rocsparse_order_S2_T4_S3_S3_T3_NS_24const_host_device_scalarIT2_EEPKT5_lPKT6_lS7_PT7_PKS4_SH_21rocsparse_index_base_b.uses_vcc, 1
	.set _ZN9rocsparseL17sddmm_coox_kernelILi512ELi8ELb0EdiidddEEv20rocsparse_operation_S1_16rocsparse_order_S2_T4_S3_S3_T3_NS_24const_host_device_scalarIT2_EEPKT5_lPKT6_lS7_PT7_PKS4_SH_21rocsparse_index_base_b.uses_flat_scratch, 0
	.set _ZN9rocsparseL17sddmm_coox_kernelILi512ELi8ELb0EdiidddEEv20rocsparse_operation_S1_16rocsparse_order_S2_T4_S3_S3_T3_NS_24const_host_device_scalarIT2_EEPKT5_lPKT6_lS7_PT7_PKS4_SH_21rocsparse_index_base_b.has_dyn_sized_stack, 0
	.set _ZN9rocsparseL17sddmm_coox_kernelILi512ELi8ELb0EdiidddEEv20rocsparse_operation_S1_16rocsparse_order_S2_T4_S3_S3_T3_NS_24const_host_device_scalarIT2_EEPKT5_lPKT6_lS7_PT7_PKS4_SH_21rocsparse_index_base_b.has_recursion, 0
	.set _ZN9rocsparseL17sddmm_coox_kernelILi512ELi8ELb0EdiidddEEv20rocsparse_operation_S1_16rocsparse_order_S2_T4_S3_S3_T3_NS_24const_host_device_scalarIT2_EEPKT5_lPKT6_lS7_PT7_PKS4_SH_21rocsparse_index_base_b.has_indirect_call, 0
	.section	.AMDGPU.csdata,"",@progbits
; Kernel info:
; codeLenInByte = 1188
; TotalNumSgprs: 18
; NumVgprs: 23
; ScratchSize: 0
; MemoryBound: 0
; FloatMode: 240
; IeeeMode: 1
; LDSByteSize: 4096 bytes/workgroup (compile time only)
; SGPRBlocks: 0
; VGPRBlocks: 2
; NumSGPRsForWavesPerEU: 18
; NumVGPRsForWavesPerEU: 23
; Occupancy: 16
; WaveLimiterHint : 1
; COMPUTE_PGM_RSRC2:SCRATCH_EN: 0
; COMPUTE_PGM_RSRC2:USER_SGPR: 6
; COMPUTE_PGM_RSRC2:TRAP_HANDLER: 0
; COMPUTE_PGM_RSRC2:TGID_X_EN: 1
; COMPUTE_PGM_RSRC2:TGID_Y_EN: 0
; COMPUTE_PGM_RSRC2:TGID_Z_EN: 0
; COMPUTE_PGM_RSRC2:TIDIG_COMP_CNT: 0
	.section	.text._ZN9rocsparseL17sddmm_coox_kernelILi512ELi4ELb0EdiidddEEv20rocsparse_operation_S1_16rocsparse_order_S2_T4_S3_S3_T3_NS_24const_host_device_scalarIT2_EEPKT5_lPKT6_lS7_PT7_PKS4_SH_21rocsparse_index_base_b,"axG",@progbits,_ZN9rocsparseL17sddmm_coox_kernelILi512ELi4ELb0EdiidddEEv20rocsparse_operation_S1_16rocsparse_order_S2_T4_S3_S3_T3_NS_24const_host_device_scalarIT2_EEPKT5_lPKT6_lS7_PT7_PKS4_SH_21rocsparse_index_base_b,comdat
	.globl	_ZN9rocsparseL17sddmm_coox_kernelILi512ELi4ELb0EdiidddEEv20rocsparse_operation_S1_16rocsparse_order_S2_T4_S3_S3_T3_NS_24const_host_device_scalarIT2_EEPKT5_lPKT6_lS7_PT7_PKS4_SH_21rocsparse_index_base_b ; -- Begin function _ZN9rocsparseL17sddmm_coox_kernelILi512ELi4ELb0EdiidddEEv20rocsparse_operation_S1_16rocsparse_order_S2_T4_S3_S3_T3_NS_24const_host_device_scalarIT2_EEPKT5_lPKT6_lS7_PT7_PKS4_SH_21rocsparse_index_base_b
	.p2align	8
	.type	_ZN9rocsparseL17sddmm_coox_kernelILi512ELi4ELb0EdiidddEEv20rocsparse_operation_S1_16rocsparse_order_S2_T4_S3_S3_T3_NS_24const_host_device_scalarIT2_EEPKT5_lPKT6_lS7_PT7_PKS4_SH_21rocsparse_index_base_b,@function
_ZN9rocsparseL17sddmm_coox_kernelILi512ELi4ELb0EdiidddEEv20rocsparse_operation_S1_16rocsparse_order_S2_T4_S3_S3_T3_NS_24const_host_device_scalarIT2_EEPKT5_lPKT6_lS7_PT7_PKS4_SH_21rocsparse_index_base_b: ; @_ZN9rocsparseL17sddmm_coox_kernelILi512ELi4ELb0EdiidddEEv20rocsparse_operation_S1_16rocsparse_order_S2_T4_S3_S3_T3_NS_24const_host_device_scalarIT2_EEPKT5_lPKT6_lS7_PT7_PKS4_SH_21rocsparse_index_base_b
; %bb.0:
	s_clause 0x2
	s_load_dwordx2 s[12:13], s[4:5], 0x68
	s_load_dwordx2 s[0:1], s[4:5], 0x20
	s_load_dwordx4 s[8:11], s[4:5], 0x40
	s_waitcnt lgkmcnt(0)
	s_bitcmp1_b32 s13, 0
	v_mov_b32_e32 v2, s1
	v_mov_b32_e32 v1, s0
	s_cselect_b32 s2, -1, 0
	s_and_b32 vcc_lo, exec_lo, s2
	s_xor_b32 s2, s2, -1
	s_cbranch_vccnz .LBB12_2
; %bb.1:
	v_mov_b32_e32 v2, s1
	v_mov_b32_e32 v1, s0
	flat_load_dwordx2 v[1:2], v[1:2]
.LBB12_2:
	v_mov_b32_e32 v3, s10
	v_mov_b32_e32 v4, s11
	s_andn2_b32 vcc_lo, exec_lo, s2
	s_cbranch_vccnz .LBB12_4
; %bb.3:
	v_mov_b32_e32 v3, s10
	v_mov_b32_e32 v4, s11
	flat_load_dwordx2 v[3:4], v[3:4]
.LBB12_4:
	s_waitcnt vmcnt(0) lgkmcnt(0)
	v_cmp_neq_f64_e32 vcc_lo, 0, v[1:2]
	v_cmp_neq_f64_e64 s0, 1.0, v[3:4]
	s_or_b32 s0, vcc_lo, s0
	s_and_saveexec_b32 s1, s0
	s_cbranch_execz .LBB12_32
; %bb.5:
	s_load_dwordx2 s[10:11], s[4:5], 0x18
	v_lshrrev_b32_e32 v13, 2, v0
	v_lshl_or_b32 v5, s6, 7, v13
	s_waitcnt lgkmcnt(0)
	v_cmp_gt_i32_e32 vcc_lo, s11, v5
	s_and_b32 exec_lo, exec_lo, vcc_lo
	s_cbranch_execz .LBB12_32
; %bb.6:
	s_load_dwordx4 s[0:3], s[4:5], 0x58
	v_ashrrev_i32_e32 v6, 31, v5
	v_lshlrev_b64 v[7:8], 2, v[5:6]
	s_waitcnt lgkmcnt(0)
	v_add_co_u32 v9, vcc_lo, s0, v7
	v_add_co_ci_u32_e64 v10, null, s1, v8, vcc_lo
	v_add_co_u32 v7, vcc_lo, s2, v7
	v_add_co_ci_u32_e64 v8, null, s3, v8, vcc_lo
	global_load_dword v9, v[9:10], off
	global_load_dword v11, v[7:8], off
	s_clause 0x1
	s_load_dwordx4 s[0:3], s[4:5], 0x0
	s_load_dwordx2 s[6:7], s[4:5], 0x30
	s_waitcnt lgkmcnt(0)
	s_cmp_eq_u32 s2, 1
	s_cselect_b32 s11, -1, 0
	s_cmpk_eq_i32 s0, 0x6f
	s_cselect_b32 s13, -1, 0
	s_cmpk_lg_i32 s0, 0x6f
	s_cselect_b32 s0, -1, 0
	s_cmp_lg_u32 s2, 1
	s_waitcnt vmcnt(1)
	v_subrev_nc_u32_e32 v9, s12, v9
	v_ashrrev_i32_e32 v10, 31, v9
	s_cbranch_scc0 .LBB12_10
; %bb.7:
	v_mov_b32_e32 v7, v9
	v_mov_b32_e32 v8, v10
	s_andn2_b32 vcc_lo, exec_lo, s13
	s_cbranch_vccnz .LBB12_9
; %bb.8:
	v_mul_lo_u32 v12, s7, v9
	v_mul_lo_u32 v14, s6, v10
	v_mad_u64_u32 v[7:8], null, s6, v9, 0
	v_add3_u32 v8, v8, v14, v12
.LBB12_9:
	s_cbranch_execz .LBB12_11
	s_branch .LBB12_14
.LBB12_10:
                                        ; implicit-def: $vgpr7_vgpr8
.LBB12_11:
	s_andn2_b32 vcc_lo, exec_lo, s0
	s_cbranch_vccnz .LBB12_13
; %bb.12:
	v_mul_lo_u32 v7, s7, v9
	v_mul_lo_u32 v8, s6, v10
	v_mad_u64_u32 v[9:10], null, s6, v9, 0
	v_add3_u32 v10, v10, v8, v7
.LBB12_13:
	v_mov_b32_e32 v7, v9
	v_mov_b32_e32 v8, v10
.LBB12_14:
	s_waitcnt vmcnt(0)
	v_subrev_nc_u32_e32 v9, s12, v11
	s_cmp_eq_u32 s3, 1
	s_cselect_b32 s2, -1, 0
	s_cmpk_eq_i32 s1, 0x6f
	v_ashrrev_i32_e32 v10, 31, v9
	s_cselect_b32 s7, -1, 0
	s_cmpk_lg_i32 s1, 0x6f
	s_cselect_b32 s0, -1, 0
	s_cmp_lg_u32 s3, 1
	s_cbranch_scc0 .LBB12_18
; %bb.15:
	v_mov_b32_e32 v12, v10
	v_mov_b32_e32 v11, v9
	s_andn2_b32 vcc_lo, exec_lo, s0
	s_cbranch_vccnz .LBB12_17
; %bb.16:
	v_mul_lo_u32 v14, s9, v9
	v_mul_lo_u32 v15, s8, v10
	v_mad_u64_u32 v[11:12], null, s8, v9, 0
	v_add3_u32 v12, v12, v15, v14
.LBB12_17:
	s_cbranch_execz .LBB12_19
	s_branch .LBB12_22
.LBB12_18:
                                        ; implicit-def: $vgpr11_vgpr12
.LBB12_19:
	s_andn2_b32 vcc_lo, exec_lo, s7
	s_cbranch_vccnz .LBB12_21
; %bb.20:
	v_mul_lo_u32 v11, s9, v9
	v_mul_lo_u32 v12, s8, v10
	v_mad_u64_u32 v[9:10], null, s8, v9, 0
	v_add3_u32 v10, v10, v12, v11
.LBB12_21:
	v_mov_b32_e32 v12, v10
	v_mov_b32_e32 v11, v9
.LBB12_22:
	s_load_dwordx2 s[0:1], s[4:5], 0x50
	v_mov_b32_e32 v9, 0
	v_and_b32_e32 v0, 3, v0
	v_mov_b32_e32 v10, 0
	s_mov_b32 s3, exec_lo
	v_cmpx_gt_i32_e64 s10, v0
	s_cbranch_execz .LBB12_26
; %bb.23:
	s_clause 0x1
	s_load_dwordx2 s[14:15], s[4:5], 0x38
	s_load_dwordx2 s[4:5], s[4:5], 0x28
	s_xor_b32 s9, s13, s11
	v_lshlrev_b64 v[14:15], 3, v[11:12]
	s_and_b32 s9, s9, exec_lo
	v_lshlrev_b64 v[16:17], 3, v[7:8]
	s_cselect_b32 s6, 1, s6
	s_xor_b32 s2, s7, s2
	v_mul_lo_u32 v7, s6, v0
	s_and_b32 s2, s2, exec_lo
	s_cselect_b32 s2, s8, 1
	v_mov_b32_e32 v9, 0
	v_mul_lo_u32 v11, s2, v0
	v_mov_b32_e32 v10, 0
	v_mov_b32_e32 v18, v0
	s_lshl_b32 s2, s2, 2
	s_waitcnt lgkmcnt(0)
	v_add_co_u32 v14, vcc_lo, s14, v14
	v_add_co_ci_u32_e64 v15, null, s15, v15, vcc_lo
	v_add_co_u32 v16, vcc_lo, s4, v16
	v_add_co_ci_u32_e64 v17, null, s5, v17, vcc_lo
	s_lshl_b32 s5, s6, 2
	s_mov_b32 s4, 0
	.p2align	6
.LBB12_24:                              ; =>This Inner Loop Header: Depth=1
	v_ashrrev_i32_e32 v8, 31, v7
	v_ashrrev_i32_e32 v12, 31, v11
	v_add_nc_u32_e32 v18, 4, v18
	v_lshlrev_b64 v[19:20], 3, v[7:8]
	v_lshlrev_b64 v[21:22], 3, v[11:12]
	v_add_nc_u32_e32 v11, s2, v11
	v_add_nc_u32_e32 v7, s5, v7
	v_add_co_u32 v19, vcc_lo, v16, v19
	v_add_co_ci_u32_e64 v20, null, v17, v20, vcc_lo
	v_add_co_u32 v21, vcc_lo, v14, v21
	v_add_co_ci_u32_e64 v22, null, v15, v22, vcc_lo
	global_load_dwordx2 v[19:20], v[19:20], off
	global_load_dwordx2 v[21:22], v[21:22], off
	v_cmp_le_i32_e32 vcc_lo, s10, v18
	s_or_b32 s4, vcc_lo, s4
	s_waitcnt vmcnt(0)
	v_fma_f64 v[9:10], v[19:20], v[21:22], v[9:10]
	s_andn2_b32 exec_lo, exec_lo, s4
	s_cbranch_execnz .LBB12_24
; %bb.25:
	s_or_b32 exec_lo, exec_lo, s4
.LBB12_26:
	s_or_b32 exec_lo, exec_lo, s3
	v_lshlrev_b32_e32 v7, 5, v13
	s_mov_b32 s2, exec_lo
	v_lshl_or_b32 v8, v0, 3, v7
	ds_write_b64 v8, v[9:10]
	s_waitcnt lgkmcnt(0)
	s_barrier
	buffer_gl0_inv
	v_cmpx_gt_u32_e32 2, v0
	s_cbranch_execz .LBB12_28
; %bb.27:
	ds_read2_b64 v[9:12], v8 offset1:2
	s_waitcnt lgkmcnt(0)
	v_add_f64 v[9:10], v[11:12], v[9:10]
	ds_write_b64 v8, v[9:10]
.LBB12_28:
	s_or_b32 exec_lo, exec_lo, s2
	v_cmp_eq_u32_e32 vcc_lo, 0, v0
	s_waitcnt lgkmcnt(0)
	s_barrier
	buffer_gl0_inv
	s_and_saveexec_b32 s2, vcc_lo
	s_cbranch_execz .LBB12_30
; %bb.29:
	ds_read2_b64 v[9:12], v8 offset1:1
	s_waitcnt lgkmcnt(0)
	v_add_f64 v[9:10], v[11:12], v[9:10]
	ds_write_b64 v8, v[9:10]
.LBB12_30:
	s_or_b32 exec_lo, exec_lo, s2
	s_waitcnt lgkmcnt(0)
	s_barrier
	buffer_gl0_inv
	s_and_b32 exec_lo, exec_lo, vcc_lo
	s_cbranch_execz .LBB12_32
; %bb.31:
	v_lshlrev_b64 v[5:6], 3, v[5:6]
	ds_read_b64 v[10:11], v7
	v_add_co_u32 v5, vcc_lo, s0, v5
	v_add_co_ci_u32_e64 v6, null, s1, v6, vcc_lo
	global_load_dwordx2 v[8:9], v[5:6], off
	s_waitcnt lgkmcnt(0)
	v_mul_f64 v[0:1], v[1:2], v[10:11]
	s_waitcnt vmcnt(0)
	v_fma_f64 v[0:1], v[3:4], v[8:9], v[0:1]
	global_store_dwordx2 v[5:6], v[0:1], off
.LBB12_32:
	s_endpgm
	.section	.rodata,"a",@progbits
	.p2align	6, 0x0
	.amdhsa_kernel _ZN9rocsparseL17sddmm_coox_kernelILi512ELi4ELb0EdiidddEEv20rocsparse_operation_S1_16rocsparse_order_S2_T4_S3_S3_T3_NS_24const_host_device_scalarIT2_EEPKT5_lPKT6_lS7_PT7_PKS4_SH_21rocsparse_index_base_b
		.amdhsa_group_segment_fixed_size 4096
		.amdhsa_private_segment_fixed_size 0
		.amdhsa_kernarg_size 112
		.amdhsa_user_sgpr_count 6
		.amdhsa_user_sgpr_private_segment_buffer 1
		.amdhsa_user_sgpr_dispatch_ptr 0
		.amdhsa_user_sgpr_queue_ptr 0
		.amdhsa_user_sgpr_kernarg_segment_ptr 1
		.amdhsa_user_sgpr_dispatch_id 0
		.amdhsa_user_sgpr_flat_scratch_init 0
		.amdhsa_user_sgpr_private_segment_size 0
		.amdhsa_wavefront_size32 1
		.amdhsa_uses_dynamic_stack 0
		.amdhsa_system_sgpr_private_segment_wavefront_offset 0
		.amdhsa_system_sgpr_workgroup_id_x 1
		.amdhsa_system_sgpr_workgroup_id_y 0
		.amdhsa_system_sgpr_workgroup_id_z 0
		.amdhsa_system_sgpr_workgroup_info 0
		.amdhsa_system_vgpr_workitem_id 0
		.amdhsa_next_free_vgpr 23
		.amdhsa_next_free_sgpr 16
		.amdhsa_reserve_vcc 1
		.amdhsa_reserve_flat_scratch 0
		.amdhsa_float_round_mode_32 0
		.amdhsa_float_round_mode_16_64 0
		.amdhsa_float_denorm_mode_32 3
		.amdhsa_float_denorm_mode_16_64 3
		.amdhsa_dx10_clamp 1
		.amdhsa_ieee_mode 1
		.amdhsa_fp16_overflow 0
		.amdhsa_workgroup_processor_mode 1
		.amdhsa_memory_ordered 1
		.amdhsa_forward_progress 1
		.amdhsa_shared_vgpr_count 0
		.amdhsa_exception_fp_ieee_invalid_op 0
		.amdhsa_exception_fp_denorm_src 0
		.amdhsa_exception_fp_ieee_div_zero 0
		.amdhsa_exception_fp_ieee_overflow 0
		.amdhsa_exception_fp_ieee_underflow 0
		.amdhsa_exception_fp_ieee_inexact 0
		.amdhsa_exception_int_div_zero 0
	.end_amdhsa_kernel
	.section	.text._ZN9rocsparseL17sddmm_coox_kernelILi512ELi4ELb0EdiidddEEv20rocsparse_operation_S1_16rocsparse_order_S2_T4_S3_S3_T3_NS_24const_host_device_scalarIT2_EEPKT5_lPKT6_lS7_PT7_PKS4_SH_21rocsparse_index_base_b,"axG",@progbits,_ZN9rocsparseL17sddmm_coox_kernelILi512ELi4ELb0EdiidddEEv20rocsparse_operation_S1_16rocsparse_order_S2_T4_S3_S3_T3_NS_24const_host_device_scalarIT2_EEPKT5_lPKT6_lS7_PT7_PKS4_SH_21rocsparse_index_base_b,comdat
.Lfunc_end12:
	.size	_ZN9rocsparseL17sddmm_coox_kernelILi512ELi4ELb0EdiidddEEv20rocsparse_operation_S1_16rocsparse_order_S2_T4_S3_S3_T3_NS_24const_host_device_scalarIT2_EEPKT5_lPKT6_lS7_PT7_PKS4_SH_21rocsparse_index_base_b, .Lfunc_end12-_ZN9rocsparseL17sddmm_coox_kernelILi512ELi4ELb0EdiidddEEv20rocsparse_operation_S1_16rocsparse_order_S2_T4_S3_S3_T3_NS_24const_host_device_scalarIT2_EEPKT5_lPKT6_lS7_PT7_PKS4_SH_21rocsparse_index_base_b
                                        ; -- End function
	.set _ZN9rocsparseL17sddmm_coox_kernelILi512ELi4ELb0EdiidddEEv20rocsparse_operation_S1_16rocsparse_order_S2_T4_S3_S3_T3_NS_24const_host_device_scalarIT2_EEPKT5_lPKT6_lS7_PT7_PKS4_SH_21rocsparse_index_base_b.num_vgpr, 23
	.set _ZN9rocsparseL17sddmm_coox_kernelILi512ELi4ELb0EdiidddEEv20rocsparse_operation_S1_16rocsparse_order_S2_T4_S3_S3_T3_NS_24const_host_device_scalarIT2_EEPKT5_lPKT6_lS7_PT7_PKS4_SH_21rocsparse_index_base_b.num_agpr, 0
	.set _ZN9rocsparseL17sddmm_coox_kernelILi512ELi4ELb0EdiidddEEv20rocsparse_operation_S1_16rocsparse_order_S2_T4_S3_S3_T3_NS_24const_host_device_scalarIT2_EEPKT5_lPKT6_lS7_PT7_PKS4_SH_21rocsparse_index_base_b.numbered_sgpr, 16
	.set _ZN9rocsparseL17sddmm_coox_kernelILi512ELi4ELb0EdiidddEEv20rocsparse_operation_S1_16rocsparse_order_S2_T4_S3_S3_T3_NS_24const_host_device_scalarIT2_EEPKT5_lPKT6_lS7_PT7_PKS4_SH_21rocsparse_index_base_b.num_named_barrier, 0
	.set _ZN9rocsparseL17sddmm_coox_kernelILi512ELi4ELb0EdiidddEEv20rocsparse_operation_S1_16rocsparse_order_S2_T4_S3_S3_T3_NS_24const_host_device_scalarIT2_EEPKT5_lPKT6_lS7_PT7_PKS4_SH_21rocsparse_index_base_b.private_seg_size, 0
	.set _ZN9rocsparseL17sddmm_coox_kernelILi512ELi4ELb0EdiidddEEv20rocsparse_operation_S1_16rocsparse_order_S2_T4_S3_S3_T3_NS_24const_host_device_scalarIT2_EEPKT5_lPKT6_lS7_PT7_PKS4_SH_21rocsparse_index_base_b.uses_vcc, 1
	.set _ZN9rocsparseL17sddmm_coox_kernelILi512ELi4ELb0EdiidddEEv20rocsparse_operation_S1_16rocsparse_order_S2_T4_S3_S3_T3_NS_24const_host_device_scalarIT2_EEPKT5_lPKT6_lS7_PT7_PKS4_SH_21rocsparse_index_base_b.uses_flat_scratch, 0
	.set _ZN9rocsparseL17sddmm_coox_kernelILi512ELi4ELb0EdiidddEEv20rocsparse_operation_S1_16rocsparse_order_S2_T4_S3_S3_T3_NS_24const_host_device_scalarIT2_EEPKT5_lPKT6_lS7_PT7_PKS4_SH_21rocsparse_index_base_b.has_dyn_sized_stack, 0
	.set _ZN9rocsparseL17sddmm_coox_kernelILi512ELi4ELb0EdiidddEEv20rocsparse_operation_S1_16rocsparse_order_S2_T4_S3_S3_T3_NS_24const_host_device_scalarIT2_EEPKT5_lPKT6_lS7_PT7_PKS4_SH_21rocsparse_index_base_b.has_recursion, 0
	.set _ZN9rocsparseL17sddmm_coox_kernelILi512ELi4ELb0EdiidddEEv20rocsparse_operation_S1_16rocsparse_order_S2_T4_S3_S3_T3_NS_24const_host_device_scalarIT2_EEPKT5_lPKT6_lS7_PT7_PKS4_SH_21rocsparse_index_base_b.has_indirect_call, 0
	.section	.AMDGPU.csdata,"",@progbits
; Kernel info:
; codeLenInByte = 1128
; TotalNumSgprs: 18
; NumVgprs: 23
; ScratchSize: 0
; MemoryBound: 0
; FloatMode: 240
; IeeeMode: 1
; LDSByteSize: 4096 bytes/workgroup (compile time only)
; SGPRBlocks: 0
; VGPRBlocks: 2
; NumSGPRsForWavesPerEU: 18
; NumVGPRsForWavesPerEU: 23
; Occupancy: 16
; WaveLimiterHint : 1
; COMPUTE_PGM_RSRC2:SCRATCH_EN: 0
; COMPUTE_PGM_RSRC2:USER_SGPR: 6
; COMPUTE_PGM_RSRC2:TRAP_HANDLER: 0
; COMPUTE_PGM_RSRC2:TGID_X_EN: 1
; COMPUTE_PGM_RSRC2:TGID_Y_EN: 0
; COMPUTE_PGM_RSRC2:TGID_Z_EN: 0
; COMPUTE_PGM_RSRC2:TIDIG_COMP_CNT: 0
	.section	.text._ZN9rocsparseL17sddmm_coox_kernelILi512ELi2ELb0EdiidddEEv20rocsparse_operation_S1_16rocsparse_order_S2_T4_S3_S3_T3_NS_24const_host_device_scalarIT2_EEPKT5_lPKT6_lS7_PT7_PKS4_SH_21rocsparse_index_base_b,"axG",@progbits,_ZN9rocsparseL17sddmm_coox_kernelILi512ELi2ELb0EdiidddEEv20rocsparse_operation_S1_16rocsparse_order_S2_T4_S3_S3_T3_NS_24const_host_device_scalarIT2_EEPKT5_lPKT6_lS7_PT7_PKS4_SH_21rocsparse_index_base_b,comdat
	.globl	_ZN9rocsparseL17sddmm_coox_kernelILi512ELi2ELb0EdiidddEEv20rocsparse_operation_S1_16rocsparse_order_S2_T4_S3_S3_T3_NS_24const_host_device_scalarIT2_EEPKT5_lPKT6_lS7_PT7_PKS4_SH_21rocsparse_index_base_b ; -- Begin function _ZN9rocsparseL17sddmm_coox_kernelILi512ELi2ELb0EdiidddEEv20rocsparse_operation_S1_16rocsparse_order_S2_T4_S3_S3_T3_NS_24const_host_device_scalarIT2_EEPKT5_lPKT6_lS7_PT7_PKS4_SH_21rocsparse_index_base_b
	.p2align	8
	.type	_ZN9rocsparseL17sddmm_coox_kernelILi512ELi2ELb0EdiidddEEv20rocsparse_operation_S1_16rocsparse_order_S2_T4_S3_S3_T3_NS_24const_host_device_scalarIT2_EEPKT5_lPKT6_lS7_PT7_PKS4_SH_21rocsparse_index_base_b,@function
_ZN9rocsparseL17sddmm_coox_kernelILi512ELi2ELb0EdiidddEEv20rocsparse_operation_S1_16rocsparse_order_S2_T4_S3_S3_T3_NS_24const_host_device_scalarIT2_EEPKT5_lPKT6_lS7_PT7_PKS4_SH_21rocsparse_index_base_b: ; @_ZN9rocsparseL17sddmm_coox_kernelILi512ELi2ELb0EdiidddEEv20rocsparse_operation_S1_16rocsparse_order_S2_T4_S3_S3_T3_NS_24const_host_device_scalarIT2_EEPKT5_lPKT6_lS7_PT7_PKS4_SH_21rocsparse_index_base_b
; %bb.0:
	s_clause 0x2
	s_load_dwordx2 s[12:13], s[4:5], 0x68
	s_load_dwordx2 s[0:1], s[4:5], 0x20
	s_load_dwordx4 s[8:11], s[4:5], 0x40
	s_waitcnt lgkmcnt(0)
	s_bitcmp1_b32 s13, 0
	v_mov_b32_e32 v2, s1
	v_mov_b32_e32 v1, s0
	s_cselect_b32 s2, -1, 0
	s_and_b32 vcc_lo, exec_lo, s2
	s_xor_b32 s2, s2, -1
	s_cbranch_vccnz .LBB13_2
; %bb.1:
	v_mov_b32_e32 v2, s1
	v_mov_b32_e32 v1, s0
	flat_load_dwordx2 v[1:2], v[1:2]
.LBB13_2:
	v_mov_b32_e32 v3, s10
	v_mov_b32_e32 v4, s11
	s_andn2_b32 vcc_lo, exec_lo, s2
	s_cbranch_vccnz .LBB13_4
; %bb.3:
	v_mov_b32_e32 v3, s10
	v_mov_b32_e32 v4, s11
	flat_load_dwordx2 v[3:4], v[3:4]
.LBB13_4:
	s_waitcnt vmcnt(0) lgkmcnt(0)
	v_cmp_neq_f64_e32 vcc_lo, 0, v[1:2]
	v_cmp_neq_f64_e64 s0, 1.0, v[3:4]
	s_or_b32 s0, vcc_lo, s0
	s_and_saveexec_b32 s1, s0
	s_cbranch_execz .LBB13_30
; %bb.5:
	s_load_dwordx2 s[10:11], s[4:5], 0x18
	v_lshrrev_b32_e32 v13, 1, v0
	v_lshl_or_b32 v5, s6, 8, v13
	s_waitcnt lgkmcnt(0)
	v_cmp_gt_i32_e32 vcc_lo, s11, v5
	s_and_b32 exec_lo, exec_lo, vcc_lo
	s_cbranch_execz .LBB13_30
; %bb.6:
	s_load_dwordx4 s[0:3], s[4:5], 0x58
	v_ashrrev_i32_e32 v6, 31, v5
	v_lshlrev_b64 v[7:8], 2, v[5:6]
	s_waitcnt lgkmcnt(0)
	v_add_co_u32 v9, vcc_lo, s0, v7
	v_add_co_ci_u32_e64 v10, null, s1, v8, vcc_lo
	v_add_co_u32 v7, vcc_lo, s2, v7
	v_add_co_ci_u32_e64 v8, null, s3, v8, vcc_lo
	global_load_dword v9, v[9:10], off
	global_load_dword v11, v[7:8], off
	s_clause 0x1
	s_load_dwordx4 s[0:3], s[4:5], 0x0
	s_load_dwordx2 s[6:7], s[4:5], 0x30
	s_waitcnt lgkmcnt(0)
	s_cmp_eq_u32 s2, 1
	s_cselect_b32 s11, -1, 0
	s_cmpk_eq_i32 s0, 0x6f
	s_cselect_b32 s13, -1, 0
	s_cmpk_lg_i32 s0, 0x6f
	s_cselect_b32 s0, -1, 0
	s_cmp_lg_u32 s2, 1
	s_waitcnt vmcnt(1)
	v_subrev_nc_u32_e32 v9, s12, v9
	v_ashrrev_i32_e32 v10, 31, v9
	s_cbranch_scc0 .LBB13_10
; %bb.7:
	v_mov_b32_e32 v7, v9
	v_mov_b32_e32 v8, v10
	s_andn2_b32 vcc_lo, exec_lo, s13
	s_cbranch_vccnz .LBB13_9
; %bb.8:
	v_mul_lo_u32 v12, s7, v9
	v_mul_lo_u32 v14, s6, v10
	v_mad_u64_u32 v[7:8], null, s6, v9, 0
	v_add3_u32 v8, v8, v14, v12
.LBB13_9:
	s_cbranch_execz .LBB13_11
	s_branch .LBB13_14
.LBB13_10:
                                        ; implicit-def: $vgpr7_vgpr8
.LBB13_11:
	s_andn2_b32 vcc_lo, exec_lo, s0
	s_cbranch_vccnz .LBB13_13
; %bb.12:
	v_mul_lo_u32 v7, s7, v9
	v_mul_lo_u32 v8, s6, v10
	v_mad_u64_u32 v[9:10], null, s6, v9, 0
	v_add3_u32 v10, v10, v8, v7
.LBB13_13:
	v_mov_b32_e32 v7, v9
	v_mov_b32_e32 v8, v10
.LBB13_14:
	s_waitcnt vmcnt(0)
	v_subrev_nc_u32_e32 v9, s12, v11
	s_cmp_eq_u32 s3, 1
	s_cselect_b32 s2, -1, 0
	s_cmpk_eq_i32 s1, 0x6f
	v_ashrrev_i32_e32 v10, 31, v9
	s_cselect_b32 s7, -1, 0
	s_cmpk_lg_i32 s1, 0x6f
	s_cselect_b32 s0, -1, 0
	s_cmp_lg_u32 s3, 1
	s_cbranch_scc0 .LBB13_18
; %bb.15:
	v_mov_b32_e32 v12, v10
	v_mov_b32_e32 v11, v9
	s_andn2_b32 vcc_lo, exec_lo, s0
	s_cbranch_vccnz .LBB13_17
; %bb.16:
	v_mul_lo_u32 v14, s9, v9
	v_mul_lo_u32 v15, s8, v10
	v_mad_u64_u32 v[11:12], null, s8, v9, 0
	v_add3_u32 v12, v12, v15, v14
.LBB13_17:
	s_cbranch_execz .LBB13_19
	s_branch .LBB13_22
.LBB13_18:
                                        ; implicit-def: $vgpr11_vgpr12
.LBB13_19:
	s_andn2_b32 vcc_lo, exec_lo, s7
	s_cbranch_vccnz .LBB13_21
; %bb.20:
	v_mul_lo_u32 v11, s9, v9
	v_mul_lo_u32 v12, s8, v10
	v_mad_u64_u32 v[9:10], null, s8, v9, 0
	v_add3_u32 v10, v10, v12, v11
.LBB13_21:
	v_mov_b32_e32 v12, v10
	v_mov_b32_e32 v11, v9
.LBB13_22:
	s_load_dwordx2 s[0:1], s[4:5], 0x50
	v_mov_b32_e32 v9, 0
	v_and_b32_e32 v0, 1, v0
	v_mov_b32_e32 v10, 0
	s_mov_b32 s3, exec_lo
	v_cmpx_gt_i32_e64 s10, v0
	s_cbranch_execz .LBB13_26
; %bb.23:
	s_clause 0x1
	s_load_dwordx2 s[14:15], s[4:5], 0x38
	s_load_dwordx2 s[4:5], s[4:5], 0x28
	s_xor_b32 s9, s13, s11
	v_lshlrev_b64 v[14:15], 3, v[11:12]
	s_and_b32 s9, s9, exec_lo
	v_lshlrev_b64 v[16:17], 3, v[7:8]
	s_cselect_b32 s6, 1, s6
	s_xor_b32 s2, s7, s2
	v_mul_lo_u32 v7, s6, v0
	s_and_b32 s2, s2, exec_lo
	s_cselect_b32 s2, s8, 1
	v_mov_b32_e32 v9, 0
	v_mul_lo_u32 v11, s2, v0
	v_mov_b32_e32 v10, 0
	v_mov_b32_e32 v18, v0
	s_lshl_b32 s2, s2, 1
	s_waitcnt lgkmcnt(0)
	v_add_co_u32 v14, vcc_lo, s14, v14
	v_add_co_ci_u32_e64 v15, null, s15, v15, vcc_lo
	v_add_co_u32 v16, vcc_lo, s4, v16
	v_add_co_ci_u32_e64 v17, null, s5, v17, vcc_lo
	s_lshl_b32 s5, s6, 1
	s_mov_b32 s4, 0
	.p2align	6
.LBB13_24:                              ; =>This Inner Loop Header: Depth=1
	v_ashrrev_i32_e32 v8, 31, v7
	v_ashrrev_i32_e32 v12, 31, v11
	v_add_nc_u32_e32 v18, 2, v18
	v_lshlrev_b64 v[19:20], 3, v[7:8]
	v_lshlrev_b64 v[21:22], 3, v[11:12]
	v_add_nc_u32_e32 v11, s2, v11
	v_add_nc_u32_e32 v7, s5, v7
	v_add_co_u32 v19, vcc_lo, v16, v19
	v_add_co_ci_u32_e64 v20, null, v17, v20, vcc_lo
	v_add_co_u32 v21, vcc_lo, v14, v21
	v_add_co_ci_u32_e64 v22, null, v15, v22, vcc_lo
	global_load_dwordx2 v[19:20], v[19:20], off
	global_load_dwordx2 v[21:22], v[21:22], off
	v_cmp_le_i32_e32 vcc_lo, s10, v18
	s_or_b32 s4, vcc_lo, s4
	s_waitcnt vmcnt(0)
	v_fma_f64 v[9:10], v[19:20], v[21:22], v[9:10]
	s_andn2_b32 exec_lo, exec_lo, s4
	s_cbranch_execnz .LBB13_24
; %bb.25:
	s_or_b32 exec_lo, exec_lo, s4
.LBB13_26:
	s_or_b32 exec_lo, exec_lo, s3
	v_lshlrev_b32_e32 v7, 4, v13
	v_cmp_eq_u32_e32 vcc_lo, 0, v0
	v_lshl_or_b32 v8, v0, 3, v7
	ds_write_b64 v8, v[9:10]
	s_waitcnt lgkmcnt(0)
	s_barrier
	buffer_gl0_inv
	s_and_saveexec_b32 s2, vcc_lo
	s_cbranch_execz .LBB13_28
; %bb.27:
	ds_read_b64 v[9:10], v7 offset:8
	ds_read_b64 v[11:12], v8
	s_waitcnt lgkmcnt(0)
	v_add_f64 v[9:10], v[9:10], v[11:12]
	ds_write_b64 v8, v[9:10]
.LBB13_28:
	s_or_b32 exec_lo, exec_lo, s2
	s_waitcnt lgkmcnt(0)
	s_barrier
	buffer_gl0_inv
	s_and_b32 exec_lo, exec_lo, vcc_lo
	s_cbranch_execz .LBB13_30
; %bb.29:
	v_lshlrev_b64 v[5:6], 3, v[5:6]
	ds_read_b64 v[10:11], v7
	v_add_co_u32 v5, vcc_lo, s0, v5
	v_add_co_ci_u32_e64 v6, null, s1, v6, vcc_lo
	global_load_dwordx2 v[8:9], v[5:6], off
	s_waitcnt lgkmcnt(0)
	v_mul_f64 v[0:1], v[1:2], v[10:11]
	s_waitcnt vmcnt(0)
	v_fma_f64 v[0:1], v[3:4], v[8:9], v[0:1]
	global_store_dwordx2 v[5:6], v[0:1], off
.LBB13_30:
	s_endpgm
	.section	.rodata,"a",@progbits
	.p2align	6, 0x0
	.amdhsa_kernel _ZN9rocsparseL17sddmm_coox_kernelILi512ELi2ELb0EdiidddEEv20rocsparse_operation_S1_16rocsparse_order_S2_T4_S3_S3_T3_NS_24const_host_device_scalarIT2_EEPKT5_lPKT6_lS7_PT7_PKS4_SH_21rocsparse_index_base_b
		.amdhsa_group_segment_fixed_size 4096
		.amdhsa_private_segment_fixed_size 0
		.amdhsa_kernarg_size 112
		.amdhsa_user_sgpr_count 6
		.amdhsa_user_sgpr_private_segment_buffer 1
		.amdhsa_user_sgpr_dispatch_ptr 0
		.amdhsa_user_sgpr_queue_ptr 0
		.amdhsa_user_sgpr_kernarg_segment_ptr 1
		.amdhsa_user_sgpr_dispatch_id 0
		.amdhsa_user_sgpr_flat_scratch_init 0
		.amdhsa_user_sgpr_private_segment_size 0
		.amdhsa_wavefront_size32 1
		.amdhsa_uses_dynamic_stack 0
		.amdhsa_system_sgpr_private_segment_wavefront_offset 0
		.amdhsa_system_sgpr_workgroup_id_x 1
		.amdhsa_system_sgpr_workgroup_id_y 0
		.amdhsa_system_sgpr_workgroup_id_z 0
		.amdhsa_system_sgpr_workgroup_info 0
		.amdhsa_system_vgpr_workitem_id 0
		.amdhsa_next_free_vgpr 23
		.amdhsa_next_free_sgpr 16
		.amdhsa_reserve_vcc 1
		.amdhsa_reserve_flat_scratch 0
		.amdhsa_float_round_mode_32 0
		.amdhsa_float_round_mode_16_64 0
		.amdhsa_float_denorm_mode_32 3
		.amdhsa_float_denorm_mode_16_64 3
		.amdhsa_dx10_clamp 1
		.amdhsa_ieee_mode 1
		.amdhsa_fp16_overflow 0
		.amdhsa_workgroup_processor_mode 1
		.amdhsa_memory_ordered 1
		.amdhsa_forward_progress 1
		.amdhsa_shared_vgpr_count 0
		.amdhsa_exception_fp_ieee_invalid_op 0
		.amdhsa_exception_fp_denorm_src 0
		.amdhsa_exception_fp_ieee_div_zero 0
		.amdhsa_exception_fp_ieee_overflow 0
		.amdhsa_exception_fp_ieee_underflow 0
		.amdhsa_exception_fp_ieee_inexact 0
		.amdhsa_exception_int_div_zero 0
	.end_amdhsa_kernel
	.section	.text._ZN9rocsparseL17sddmm_coox_kernelILi512ELi2ELb0EdiidddEEv20rocsparse_operation_S1_16rocsparse_order_S2_T4_S3_S3_T3_NS_24const_host_device_scalarIT2_EEPKT5_lPKT6_lS7_PT7_PKS4_SH_21rocsparse_index_base_b,"axG",@progbits,_ZN9rocsparseL17sddmm_coox_kernelILi512ELi2ELb0EdiidddEEv20rocsparse_operation_S1_16rocsparse_order_S2_T4_S3_S3_T3_NS_24const_host_device_scalarIT2_EEPKT5_lPKT6_lS7_PT7_PKS4_SH_21rocsparse_index_base_b,comdat
.Lfunc_end13:
	.size	_ZN9rocsparseL17sddmm_coox_kernelILi512ELi2ELb0EdiidddEEv20rocsparse_operation_S1_16rocsparse_order_S2_T4_S3_S3_T3_NS_24const_host_device_scalarIT2_EEPKT5_lPKT6_lS7_PT7_PKS4_SH_21rocsparse_index_base_b, .Lfunc_end13-_ZN9rocsparseL17sddmm_coox_kernelILi512ELi2ELb0EdiidddEEv20rocsparse_operation_S1_16rocsparse_order_S2_T4_S3_S3_T3_NS_24const_host_device_scalarIT2_EEPKT5_lPKT6_lS7_PT7_PKS4_SH_21rocsparse_index_base_b
                                        ; -- End function
	.set _ZN9rocsparseL17sddmm_coox_kernelILi512ELi2ELb0EdiidddEEv20rocsparse_operation_S1_16rocsparse_order_S2_T4_S3_S3_T3_NS_24const_host_device_scalarIT2_EEPKT5_lPKT6_lS7_PT7_PKS4_SH_21rocsparse_index_base_b.num_vgpr, 23
	.set _ZN9rocsparseL17sddmm_coox_kernelILi512ELi2ELb0EdiidddEEv20rocsparse_operation_S1_16rocsparse_order_S2_T4_S3_S3_T3_NS_24const_host_device_scalarIT2_EEPKT5_lPKT6_lS7_PT7_PKS4_SH_21rocsparse_index_base_b.num_agpr, 0
	.set _ZN9rocsparseL17sddmm_coox_kernelILi512ELi2ELb0EdiidddEEv20rocsparse_operation_S1_16rocsparse_order_S2_T4_S3_S3_T3_NS_24const_host_device_scalarIT2_EEPKT5_lPKT6_lS7_PT7_PKS4_SH_21rocsparse_index_base_b.numbered_sgpr, 16
	.set _ZN9rocsparseL17sddmm_coox_kernelILi512ELi2ELb0EdiidddEEv20rocsparse_operation_S1_16rocsparse_order_S2_T4_S3_S3_T3_NS_24const_host_device_scalarIT2_EEPKT5_lPKT6_lS7_PT7_PKS4_SH_21rocsparse_index_base_b.num_named_barrier, 0
	.set _ZN9rocsparseL17sddmm_coox_kernelILi512ELi2ELb0EdiidddEEv20rocsparse_operation_S1_16rocsparse_order_S2_T4_S3_S3_T3_NS_24const_host_device_scalarIT2_EEPKT5_lPKT6_lS7_PT7_PKS4_SH_21rocsparse_index_base_b.private_seg_size, 0
	.set _ZN9rocsparseL17sddmm_coox_kernelILi512ELi2ELb0EdiidddEEv20rocsparse_operation_S1_16rocsparse_order_S2_T4_S3_S3_T3_NS_24const_host_device_scalarIT2_EEPKT5_lPKT6_lS7_PT7_PKS4_SH_21rocsparse_index_base_b.uses_vcc, 1
	.set _ZN9rocsparseL17sddmm_coox_kernelILi512ELi2ELb0EdiidddEEv20rocsparse_operation_S1_16rocsparse_order_S2_T4_S3_S3_T3_NS_24const_host_device_scalarIT2_EEPKT5_lPKT6_lS7_PT7_PKS4_SH_21rocsparse_index_base_b.uses_flat_scratch, 0
	.set _ZN9rocsparseL17sddmm_coox_kernelILi512ELi2ELb0EdiidddEEv20rocsparse_operation_S1_16rocsparse_order_S2_T4_S3_S3_T3_NS_24const_host_device_scalarIT2_EEPKT5_lPKT6_lS7_PT7_PKS4_SH_21rocsparse_index_base_b.has_dyn_sized_stack, 0
	.set _ZN9rocsparseL17sddmm_coox_kernelILi512ELi2ELb0EdiidddEEv20rocsparse_operation_S1_16rocsparse_order_S2_T4_S3_S3_T3_NS_24const_host_device_scalarIT2_EEPKT5_lPKT6_lS7_PT7_PKS4_SH_21rocsparse_index_base_b.has_recursion, 0
	.set _ZN9rocsparseL17sddmm_coox_kernelILi512ELi2ELb0EdiidddEEv20rocsparse_operation_S1_16rocsparse_order_S2_T4_S3_S3_T3_NS_24const_host_device_scalarIT2_EEPKT5_lPKT6_lS7_PT7_PKS4_SH_21rocsparse_index_base_b.has_indirect_call, 0
	.section	.AMDGPU.csdata,"",@progbits
; Kernel info:
; codeLenInByte = 1076
; TotalNumSgprs: 18
; NumVgprs: 23
; ScratchSize: 0
; MemoryBound: 0
; FloatMode: 240
; IeeeMode: 1
; LDSByteSize: 4096 bytes/workgroup (compile time only)
; SGPRBlocks: 0
; VGPRBlocks: 2
; NumSGPRsForWavesPerEU: 18
; NumVGPRsForWavesPerEU: 23
; Occupancy: 16
; WaveLimiterHint : 1
; COMPUTE_PGM_RSRC2:SCRATCH_EN: 0
; COMPUTE_PGM_RSRC2:USER_SGPR: 6
; COMPUTE_PGM_RSRC2:TRAP_HANDLER: 0
; COMPUTE_PGM_RSRC2:TGID_X_EN: 1
; COMPUTE_PGM_RSRC2:TGID_Y_EN: 0
; COMPUTE_PGM_RSRC2:TGID_Z_EN: 0
; COMPUTE_PGM_RSRC2:TIDIG_COMP_CNT: 0
	.section	.text._ZN9rocsparseL17sddmm_coox_kernelILi512ELi1ELb0EdiidddEEv20rocsparse_operation_S1_16rocsparse_order_S2_T4_S3_S3_T3_NS_24const_host_device_scalarIT2_EEPKT5_lPKT6_lS7_PT7_PKS4_SH_21rocsparse_index_base_b,"axG",@progbits,_ZN9rocsparseL17sddmm_coox_kernelILi512ELi1ELb0EdiidddEEv20rocsparse_operation_S1_16rocsparse_order_S2_T4_S3_S3_T3_NS_24const_host_device_scalarIT2_EEPKT5_lPKT6_lS7_PT7_PKS4_SH_21rocsparse_index_base_b,comdat
	.globl	_ZN9rocsparseL17sddmm_coox_kernelILi512ELi1ELb0EdiidddEEv20rocsparse_operation_S1_16rocsparse_order_S2_T4_S3_S3_T3_NS_24const_host_device_scalarIT2_EEPKT5_lPKT6_lS7_PT7_PKS4_SH_21rocsparse_index_base_b ; -- Begin function _ZN9rocsparseL17sddmm_coox_kernelILi512ELi1ELb0EdiidddEEv20rocsparse_operation_S1_16rocsparse_order_S2_T4_S3_S3_T3_NS_24const_host_device_scalarIT2_EEPKT5_lPKT6_lS7_PT7_PKS4_SH_21rocsparse_index_base_b
	.p2align	8
	.type	_ZN9rocsparseL17sddmm_coox_kernelILi512ELi1ELb0EdiidddEEv20rocsparse_operation_S1_16rocsparse_order_S2_T4_S3_S3_T3_NS_24const_host_device_scalarIT2_EEPKT5_lPKT6_lS7_PT7_PKS4_SH_21rocsparse_index_base_b,@function
_ZN9rocsparseL17sddmm_coox_kernelILi512ELi1ELb0EdiidddEEv20rocsparse_operation_S1_16rocsparse_order_S2_T4_S3_S3_T3_NS_24const_host_device_scalarIT2_EEPKT5_lPKT6_lS7_PT7_PKS4_SH_21rocsparse_index_base_b: ; @_ZN9rocsparseL17sddmm_coox_kernelILi512ELi1ELb0EdiidddEEv20rocsparse_operation_S1_16rocsparse_order_S2_T4_S3_S3_T3_NS_24const_host_device_scalarIT2_EEPKT5_lPKT6_lS7_PT7_PKS4_SH_21rocsparse_index_base_b
; %bb.0:
	s_clause 0x2
	s_load_dwordx2 s[12:13], s[4:5], 0x68
	s_load_dwordx2 s[0:1], s[4:5], 0x20
	s_load_dwordx4 s[8:11], s[4:5], 0x40
	s_waitcnt lgkmcnt(0)
	s_bitcmp1_b32 s13, 0
	v_mov_b32_e32 v2, s1
	v_mov_b32_e32 v1, s0
	s_cselect_b32 s2, -1, 0
	s_and_b32 vcc_lo, exec_lo, s2
	s_xor_b32 s2, s2, -1
	s_cbranch_vccnz .LBB14_2
; %bb.1:
	v_mov_b32_e32 v2, s1
	v_mov_b32_e32 v1, s0
	flat_load_dwordx2 v[1:2], v[1:2]
.LBB14_2:
	v_mov_b32_e32 v3, s10
	v_mov_b32_e32 v4, s11
	s_andn2_b32 vcc_lo, exec_lo, s2
	s_cbranch_vccnz .LBB14_4
; %bb.3:
	v_mov_b32_e32 v3, s10
	v_mov_b32_e32 v4, s11
	flat_load_dwordx2 v[3:4], v[3:4]
.LBB14_4:
	s_waitcnt vmcnt(0) lgkmcnt(0)
	v_cmp_neq_f64_e32 vcc_lo, 0, v[1:2]
	v_cmp_neq_f64_e64 s0, 1.0, v[3:4]
	s_or_b32 s0, vcc_lo, s0
	s_and_saveexec_b32 s1, s0
	s_cbranch_execz .LBB14_27
; %bb.5:
	s_load_dwordx2 s[10:11], s[4:5], 0x18
	v_lshl_or_b32 v5, s6, 9, v0
	s_waitcnt lgkmcnt(0)
	v_cmp_gt_i32_e32 vcc_lo, s11, v5
	s_and_b32 exec_lo, exec_lo, vcc_lo
	s_cbranch_execz .LBB14_27
; %bb.6:
	s_load_dwordx4 s[0:3], s[4:5], 0x58
	v_ashrrev_i32_e32 v6, 31, v5
	v_lshlrev_b64 v[7:8], 2, v[5:6]
	s_waitcnt lgkmcnt(0)
	v_add_co_u32 v9, vcc_lo, s0, v7
	v_add_co_ci_u32_e64 v10, null, s1, v8, vcc_lo
	v_add_co_u32 v7, vcc_lo, s2, v7
	v_add_co_ci_u32_e64 v8, null, s3, v8, vcc_lo
	global_load_dword v9, v[9:10], off
	global_load_dword v11, v[7:8], off
	s_clause 0x1
	s_load_dwordx4 s[0:3], s[4:5], 0x0
	s_load_dwordx2 s[6:7], s[4:5], 0x30
	s_waitcnt lgkmcnt(0)
	s_cmp_eq_u32 s2, 1
	s_cselect_b32 s11, -1, 0
	s_cmpk_eq_i32 s0, 0x6f
	s_cselect_b32 s13, -1, 0
	s_cmpk_lg_i32 s0, 0x6f
	s_cselect_b32 s0, -1, 0
	s_cmp_lg_u32 s2, 1
	s_waitcnt vmcnt(1)
	v_subrev_nc_u32_e32 v9, s12, v9
	v_ashrrev_i32_e32 v10, 31, v9
	s_cbranch_scc0 .LBB14_10
; %bb.7:
	v_mov_b32_e32 v7, v9
	v_mov_b32_e32 v8, v10
	s_andn2_b32 vcc_lo, exec_lo, s13
	s_cbranch_vccnz .LBB14_9
; %bb.8:
	v_mul_lo_u32 v12, s7, v9
	v_mul_lo_u32 v13, s6, v10
	v_mad_u64_u32 v[7:8], null, s6, v9, 0
	v_add3_u32 v8, v8, v13, v12
.LBB14_9:
	s_cbranch_execz .LBB14_11
	s_branch .LBB14_14
.LBB14_10:
                                        ; implicit-def: $vgpr7_vgpr8
.LBB14_11:
	s_andn2_b32 vcc_lo, exec_lo, s0
	s_cbranch_vccnz .LBB14_13
; %bb.12:
	v_mul_lo_u32 v7, s7, v9
	v_mul_lo_u32 v8, s6, v10
	v_mad_u64_u32 v[9:10], null, s6, v9, 0
	v_add3_u32 v10, v10, v8, v7
.LBB14_13:
	v_mov_b32_e32 v7, v9
	v_mov_b32_e32 v8, v10
.LBB14_14:
	s_waitcnt vmcnt(0)
	v_subrev_nc_u32_e32 v9, s12, v11
	s_cmp_eq_u32 s3, 1
	s_cselect_b32 s2, -1, 0
	s_cmpk_eq_i32 s1, 0x6f
	v_ashrrev_i32_e32 v10, 31, v9
	s_cselect_b32 s7, -1, 0
	s_cmpk_lg_i32 s1, 0x6f
	s_cselect_b32 s0, -1, 0
	s_cmp_lg_u32 s3, 1
	s_cbranch_scc0 .LBB14_21
; %bb.15:
	v_mov_b32_e32 v12, v10
	v_mov_b32_e32 v11, v9
	s_andn2_b32 vcc_lo, exec_lo, s0
	s_cbranch_vccnz .LBB14_17
; %bb.16:
	v_mul_lo_u32 v13, s9, v9
	v_mul_lo_u32 v14, s8, v10
	v_mad_u64_u32 v[11:12], null, s8, v9, 0
	v_add3_u32 v12, v12, v14, v13
.LBB14_17:
	s_cbranch_execz .LBB14_22
; %bb.18:
	s_load_dwordx2 s[0:1], s[4:5], 0x50
	s_cmp_lt_i32 s10, 1
	s_cbranch_scc1 .LBB14_25
.LBB14_19:
	s_clause 0x1
	s_load_dwordx2 s[14:15], s[4:5], 0x38
	s_load_dwordx2 s[4:5], s[4:5], 0x28
	v_lshlrev_b64 v[9:10], 3, v[11:12]
	v_lshlrev_b64 v[11:12], 3, v[7:8]
	s_xor_b32 s3, s13, s11
	v_mov_b32_e32 v7, 0
	s_and_b32 s3, s3, exec_lo
	s_cselect_b32 s6, 1, s6
	s_xor_b32 s2, s7, s2
	v_mov_b32_e32 v8, 0
	s_and_b32 s2, s2, exec_lo
	s_cselect_b32 s2, s8, 1
	s_ashr_i32 s7, s6, 31
	s_ashr_i32 s3, s2, 31
	s_lshl_b64 s[2:3], s[2:3], 3
	s_waitcnt lgkmcnt(0)
	v_add_co_u32 v9, vcc_lo, s14, v9
	v_add_co_ci_u32_e64 v10, null, s15, v10, vcc_lo
	v_add_co_u32 v11, vcc_lo, s4, v11
	v_add_co_ci_u32_e64 v12, null, s5, v12, vcc_lo
	s_lshl_b64 s[4:5], s[6:7], 3
	.p2align	6
.LBB14_20:                              ; =>This Inner Loop Header: Depth=1
	global_load_dwordx2 v[13:14], v[11:12], off
	global_load_dwordx2 v[15:16], v[9:10], off
	v_add_co_u32 v9, vcc_lo, v9, s2
	v_add_co_ci_u32_e64 v10, null, s3, v10, vcc_lo
	v_add_co_u32 v11, vcc_lo, v11, s4
	v_add_co_ci_u32_e64 v12, null, s5, v12, vcc_lo
	s_add_i32 s10, s10, -1
	s_cmp_eq_u32 s10, 0
	s_waitcnt vmcnt(0)
	v_fma_f64 v[7:8], v[13:14], v[15:16], v[7:8]
	s_cbranch_scc0 .LBB14_20
	s_branch .LBB14_26
.LBB14_21:
                                        ; implicit-def: $vgpr11_vgpr12
.LBB14_22:
	s_andn2_b32 vcc_lo, exec_lo, s7
	s_cbranch_vccnz .LBB14_24
; %bb.23:
	v_mul_lo_u32 v11, s9, v9
	v_mul_lo_u32 v12, s8, v10
	v_mad_u64_u32 v[9:10], null, s8, v9, 0
	v_add3_u32 v10, v10, v12, v11
.LBB14_24:
	v_mov_b32_e32 v12, v10
	v_mov_b32_e32 v11, v9
	s_load_dwordx2 s[0:1], s[4:5], 0x50
	s_cmp_lt_i32 s10, 1
	s_cbranch_scc0 .LBB14_19
.LBB14_25:
	v_mov_b32_e32 v7, 0
	v_mov_b32_e32 v8, 0
.LBB14_26:
	v_lshlrev_b64 v[5:6], 3, v[5:6]
	v_lshlrev_b32_e32 v0, 3, v0
	ds_write_b64 v0, v[7:8]
	s_waitcnt lgkmcnt(0)
	v_add_co_u32 v5, vcc_lo, s0, v5
	v_add_co_ci_u32_e64 v6, null, s1, v6, vcc_lo
	s_barrier
	buffer_gl0_inv
	global_load_dwordx2 v[7:8], v[5:6], off
	ds_read_b64 v[9:10], v0
	s_waitcnt lgkmcnt(0)
	v_mul_f64 v[0:1], v[1:2], v[9:10]
	s_waitcnt vmcnt(0)
	v_fma_f64 v[0:1], v[3:4], v[7:8], v[0:1]
	global_store_dwordx2 v[5:6], v[0:1], off
.LBB14_27:
	s_endpgm
	.section	.rodata,"a",@progbits
	.p2align	6, 0x0
	.amdhsa_kernel _ZN9rocsparseL17sddmm_coox_kernelILi512ELi1ELb0EdiidddEEv20rocsparse_operation_S1_16rocsparse_order_S2_T4_S3_S3_T3_NS_24const_host_device_scalarIT2_EEPKT5_lPKT6_lS7_PT7_PKS4_SH_21rocsparse_index_base_b
		.amdhsa_group_segment_fixed_size 4096
		.amdhsa_private_segment_fixed_size 0
		.amdhsa_kernarg_size 112
		.amdhsa_user_sgpr_count 6
		.amdhsa_user_sgpr_private_segment_buffer 1
		.amdhsa_user_sgpr_dispatch_ptr 0
		.amdhsa_user_sgpr_queue_ptr 0
		.amdhsa_user_sgpr_kernarg_segment_ptr 1
		.amdhsa_user_sgpr_dispatch_id 0
		.amdhsa_user_sgpr_flat_scratch_init 0
		.amdhsa_user_sgpr_private_segment_size 0
		.amdhsa_wavefront_size32 1
		.amdhsa_uses_dynamic_stack 0
		.amdhsa_system_sgpr_private_segment_wavefront_offset 0
		.amdhsa_system_sgpr_workgroup_id_x 1
		.amdhsa_system_sgpr_workgroup_id_y 0
		.amdhsa_system_sgpr_workgroup_id_z 0
		.amdhsa_system_sgpr_workgroup_info 0
		.amdhsa_system_vgpr_workitem_id 0
		.amdhsa_next_free_vgpr 17
		.amdhsa_next_free_sgpr 16
		.amdhsa_reserve_vcc 1
		.amdhsa_reserve_flat_scratch 0
		.amdhsa_float_round_mode_32 0
		.amdhsa_float_round_mode_16_64 0
		.amdhsa_float_denorm_mode_32 3
		.amdhsa_float_denorm_mode_16_64 3
		.amdhsa_dx10_clamp 1
		.amdhsa_ieee_mode 1
		.amdhsa_fp16_overflow 0
		.amdhsa_workgroup_processor_mode 1
		.amdhsa_memory_ordered 1
		.amdhsa_forward_progress 1
		.amdhsa_shared_vgpr_count 0
		.amdhsa_exception_fp_ieee_invalid_op 0
		.amdhsa_exception_fp_denorm_src 0
		.amdhsa_exception_fp_ieee_div_zero 0
		.amdhsa_exception_fp_ieee_overflow 0
		.amdhsa_exception_fp_ieee_underflow 0
		.amdhsa_exception_fp_ieee_inexact 0
		.amdhsa_exception_int_div_zero 0
	.end_amdhsa_kernel
	.section	.text._ZN9rocsparseL17sddmm_coox_kernelILi512ELi1ELb0EdiidddEEv20rocsparse_operation_S1_16rocsparse_order_S2_T4_S3_S3_T3_NS_24const_host_device_scalarIT2_EEPKT5_lPKT6_lS7_PT7_PKS4_SH_21rocsparse_index_base_b,"axG",@progbits,_ZN9rocsparseL17sddmm_coox_kernelILi512ELi1ELb0EdiidddEEv20rocsparse_operation_S1_16rocsparse_order_S2_T4_S3_S3_T3_NS_24const_host_device_scalarIT2_EEPKT5_lPKT6_lS7_PT7_PKS4_SH_21rocsparse_index_base_b,comdat
.Lfunc_end14:
	.size	_ZN9rocsparseL17sddmm_coox_kernelILi512ELi1ELb0EdiidddEEv20rocsparse_operation_S1_16rocsparse_order_S2_T4_S3_S3_T3_NS_24const_host_device_scalarIT2_EEPKT5_lPKT6_lS7_PT7_PKS4_SH_21rocsparse_index_base_b, .Lfunc_end14-_ZN9rocsparseL17sddmm_coox_kernelILi512ELi1ELb0EdiidddEEv20rocsparse_operation_S1_16rocsparse_order_S2_T4_S3_S3_T3_NS_24const_host_device_scalarIT2_EEPKT5_lPKT6_lS7_PT7_PKS4_SH_21rocsparse_index_base_b
                                        ; -- End function
	.set _ZN9rocsparseL17sddmm_coox_kernelILi512ELi1ELb0EdiidddEEv20rocsparse_operation_S1_16rocsparse_order_S2_T4_S3_S3_T3_NS_24const_host_device_scalarIT2_EEPKT5_lPKT6_lS7_PT7_PKS4_SH_21rocsparse_index_base_b.num_vgpr, 17
	.set _ZN9rocsparseL17sddmm_coox_kernelILi512ELi1ELb0EdiidddEEv20rocsparse_operation_S1_16rocsparse_order_S2_T4_S3_S3_T3_NS_24const_host_device_scalarIT2_EEPKT5_lPKT6_lS7_PT7_PKS4_SH_21rocsparse_index_base_b.num_agpr, 0
	.set _ZN9rocsparseL17sddmm_coox_kernelILi512ELi1ELb0EdiidddEEv20rocsparse_operation_S1_16rocsparse_order_S2_T4_S3_S3_T3_NS_24const_host_device_scalarIT2_EEPKT5_lPKT6_lS7_PT7_PKS4_SH_21rocsparse_index_base_b.numbered_sgpr, 16
	.set _ZN9rocsparseL17sddmm_coox_kernelILi512ELi1ELb0EdiidddEEv20rocsparse_operation_S1_16rocsparse_order_S2_T4_S3_S3_T3_NS_24const_host_device_scalarIT2_EEPKT5_lPKT6_lS7_PT7_PKS4_SH_21rocsparse_index_base_b.num_named_barrier, 0
	.set _ZN9rocsparseL17sddmm_coox_kernelILi512ELi1ELb0EdiidddEEv20rocsparse_operation_S1_16rocsparse_order_S2_T4_S3_S3_T3_NS_24const_host_device_scalarIT2_EEPKT5_lPKT6_lS7_PT7_PKS4_SH_21rocsparse_index_base_b.private_seg_size, 0
	.set _ZN9rocsparseL17sddmm_coox_kernelILi512ELi1ELb0EdiidddEEv20rocsparse_operation_S1_16rocsparse_order_S2_T4_S3_S3_T3_NS_24const_host_device_scalarIT2_EEPKT5_lPKT6_lS7_PT7_PKS4_SH_21rocsparse_index_base_b.uses_vcc, 1
	.set _ZN9rocsparseL17sddmm_coox_kernelILi512ELi1ELb0EdiidddEEv20rocsparse_operation_S1_16rocsparse_order_S2_T4_S3_S3_T3_NS_24const_host_device_scalarIT2_EEPKT5_lPKT6_lS7_PT7_PKS4_SH_21rocsparse_index_base_b.uses_flat_scratch, 0
	.set _ZN9rocsparseL17sddmm_coox_kernelILi512ELi1ELb0EdiidddEEv20rocsparse_operation_S1_16rocsparse_order_S2_T4_S3_S3_T3_NS_24const_host_device_scalarIT2_EEPKT5_lPKT6_lS7_PT7_PKS4_SH_21rocsparse_index_base_b.has_dyn_sized_stack, 0
	.set _ZN9rocsparseL17sddmm_coox_kernelILi512ELi1ELb0EdiidddEEv20rocsparse_operation_S1_16rocsparse_order_S2_T4_S3_S3_T3_NS_24const_host_device_scalarIT2_EEPKT5_lPKT6_lS7_PT7_PKS4_SH_21rocsparse_index_base_b.has_recursion, 0
	.set _ZN9rocsparseL17sddmm_coox_kernelILi512ELi1ELb0EdiidddEEv20rocsparse_operation_S1_16rocsparse_order_S2_T4_S3_S3_T3_NS_24const_host_device_scalarIT2_EEPKT5_lPKT6_lS7_PT7_PKS4_SH_21rocsparse_index_base_b.has_indirect_call, 0
	.section	.AMDGPU.csdata,"",@progbits
; Kernel info:
; codeLenInByte = 956
; TotalNumSgprs: 18
; NumVgprs: 17
; ScratchSize: 0
; MemoryBound: 0
; FloatMode: 240
; IeeeMode: 1
; LDSByteSize: 4096 bytes/workgroup (compile time only)
; SGPRBlocks: 0
; VGPRBlocks: 2
; NumSGPRsForWavesPerEU: 18
; NumVGPRsForWavesPerEU: 17
; Occupancy: 16
; WaveLimiterHint : 1
; COMPUTE_PGM_RSRC2:SCRATCH_EN: 0
; COMPUTE_PGM_RSRC2:USER_SGPR: 6
; COMPUTE_PGM_RSRC2:TRAP_HANDLER: 0
; COMPUTE_PGM_RSRC2:TGID_X_EN: 1
; COMPUTE_PGM_RSRC2:TGID_Y_EN: 0
; COMPUTE_PGM_RSRC2:TGID_Z_EN: 0
; COMPUTE_PGM_RSRC2:TIDIG_COMP_CNT: 0
	.section	.text._ZN9rocsparseL24sddmm_coox_sample_kernelILi512ELb0E21rocsparse_complex_numIfEiiS2_EEvT3_S3_T2_PKT4_S3_PS5_PKS4_SA_21rocsparse_index_base_,"axG",@progbits,_ZN9rocsparseL24sddmm_coox_sample_kernelILi512ELb0E21rocsparse_complex_numIfEiiS2_EEvT3_S3_T2_PKT4_S3_PS5_PKS4_SA_21rocsparse_index_base_,comdat
	.globl	_ZN9rocsparseL24sddmm_coox_sample_kernelILi512ELb0E21rocsparse_complex_numIfEiiS2_EEvT3_S3_T2_PKT4_S3_PS5_PKS4_SA_21rocsparse_index_base_ ; -- Begin function _ZN9rocsparseL24sddmm_coox_sample_kernelILi512ELb0E21rocsparse_complex_numIfEiiS2_EEvT3_S3_T2_PKT4_S3_PS5_PKS4_SA_21rocsparse_index_base_
	.p2align	8
	.type	_ZN9rocsparseL24sddmm_coox_sample_kernelILi512ELb0E21rocsparse_complex_numIfEiiS2_EEvT3_S3_T2_PKT4_S3_PS5_PKS4_SA_21rocsparse_index_base_,@function
_ZN9rocsparseL24sddmm_coox_sample_kernelILi512ELb0E21rocsparse_complex_numIfEiiS2_EEvT3_S3_T2_PKT4_S3_PS5_PKS4_SA_21rocsparse_index_base_: ; @_ZN9rocsparseL24sddmm_coox_sample_kernelILi512ELb0E21rocsparse_complex_numIfEiiS2_EEvT3_S3_T2_PKT4_S3_PS5_PKS4_SA_21rocsparse_index_base_
; %bb.0:
	s_load_dword s1, s[4:5], 0x8
	v_lshl_or_b32 v0, s6, 9, v0
	s_mov_b32 s0, exec_lo
	s_waitcnt lgkmcnt(0)
	v_cmpx_gt_u32_e64 s1, v0
	s_cbranch_execz .LBB15_3
; %bb.1:
	s_clause 0x5
	s_load_dword s12, s[4:5], 0x38
	s_load_dword s0, s[4:5], 0x40
	s_load_dwordx4 s[8:11], s[4:5], 0x20
	s_load_dwordx2 s[2:3], s[4:5], 0x30
	s_load_dwordx2 s[6:7], s[4:5], 0x10
	s_load_dword s4, s[4:5], 0x18
	v_mov_b32_e32 v1, 0
	s_mov_b32 s13, 0
	s_waitcnt lgkmcnt(0)
	s_lshl_b32 s5, s0, 9
	s_inst_prefetch 0x1
	.p2align	6
.LBB15_2:                               ; =>This Inner Loop Header: Depth=1
	v_lshlrev_b64 v[2:3], 2, v[0:1]
	v_add_co_u32 v4, vcc_lo, s10, v2
	v_add_co_ci_u32_e64 v5, null, s11, v3, vcc_lo
	v_add_co_u32 v2, vcc_lo, s2, v2
	v_add_co_ci_u32_e64 v3, null, s3, v3, vcc_lo
	global_load_dword v4, v[4:5], off
	global_load_dword v3, v[2:3], off
	s_waitcnt vmcnt(1)
	v_subrev_nc_u32_e32 v2, s12, v4
	s_waitcnt vmcnt(0)
	v_subrev_nc_u32_e32 v3, s12, v3
	v_lshlrev_b64 v[4:5], 3, v[0:1]
	v_add_nc_u32_e32 v0, s5, v0
	v_mad_u64_u32 v[2:3], null, v3, s4, v[2:3]
	v_add_co_u32 v4, s0, s8, v4
	v_add_co_ci_u32_e64 v5, null, s9, v5, s0
	v_ashrrev_i32_e32 v3, 31, v2
	v_lshlrev_b64 v[2:3], 3, v[2:3]
	v_add_co_u32 v2, vcc_lo, s6, v2
	v_add_co_ci_u32_e64 v3, null, s7, v3, vcc_lo
	v_cmp_le_u32_e32 vcc_lo, s1, v0
	global_load_dwordx2 v[2:3], v[2:3], off
	s_or_b32 s13, vcc_lo, s13
	s_waitcnt vmcnt(0)
	global_store_dwordx2 v[4:5], v[2:3], off
	s_andn2_b32 exec_lo, exec_lo, s13
	s_cbranch_execnz .LBB15_2
.LBB15_3:
	s_inst_prefetch 0x2
	s_endpgm
	.section	.rodata,"a",@progbits
	.p2align	6, 0x0
	.amdhsa_kernel _ZN9rocsparseL24sddmm_coox_sample_kernelILi512ELb0E21rocsparse_complex_numIfEiiS2_EEvT3_S3_T2_PKT4_S3_PS5_PKS4_SA_21rocsparse_index_base_
		.amdhsa_group_segment_fixed_size 0
		.amdhsa_private_segment_fixed_size 0
		.amdhsa_kernarg_size 320
		.amdhsa_user_sgpr_count 6
		.amdhsa_user_sgpr_private_segment_buffer 1
		.amdhsa_user_sgpr_dispatch_ptr 0
		.amdhsa_user_sgpr_queue_ptr 0
		.amdhsa_user_sgpr_kernarg_segment_ptr 1
		.amdhsa_user_sgpr_dispatch_id 0
		.amdhsa_user_sgpr_flat_scratch_init 0
		.amdhsa_user_sgpr_private_segment_size 0
		.amdhsa_wavefront_size32 1
		.amdhsa_uses_dynamic_stack 0
		.amdhsa_system_sgpr_private_segment_wavefront_offset 0
		.amdhsa_system_sgpr_workgroup_id_x 1
		.amdhsa_system_sgpr_workgroup_id_y 0
		.amdhsa_system_sgpr_workgroup_id_z 0
		.amdhsa_system_sgpr_workgroup_info 0
		.amdhsa_system_vgpr_workitem_id 0
		.amdhsa_next_free_vgpr 6
		.amdhsa_next_free_sgpr 14
		.amdhsa_reserve_vcc 1
		.amdhsa_reserve_flat_scratch 0
		.amdhsa_float_round_mode_32 0
		.amdhsa_float_round_mode_16_64 0
		.amdhsa_float_denorm_mode_32 3
		.amdhsa_float_denorm_mode_16_64 3
		.amdhsa_dx10_clamp 1
		.amdhsa_ieee_mode 1
		.amdhsa_fp16_overflow 0
		.amdhsa_workgroup_processor_mode 1
		.amdhsa_memory_ordered 1
		.amdhsa_forward_progress 1
		.amdhsa_shared_vgpr_count 0
		.amdhsa_exception_fp_ieee_invalid_op 0
		.amdhsa_exception_fp_denorm_src 0
		.amdhsa_exception_fp_ieee_div_zero 0
		.amdhsa_exception_fp_ieee_overflow 0
		.amdhsa_exception_fp_ieee_underflow 0
		.amdhsa_exception_fp_ieee_inexact 0
		.amdhsa_exception_int_div_zero 0
	.end_amdhsa_kernel
	.section	.text._ZN9rocsparseL24sddmm_coox_sample_kernelILi512ELb0E21rocsparse_complex_numIfEiiS2_EEvT3_S3_T2_PKT4_S3_PS5_PKS4_SA_21rocsparse_index_base_,"axG",@progbits,_ZN9rocsparseL24sddmm_coox_sample_kernelILi512ELb0E21rocsparse_complex_numIfEiiS2_EEvT3_S3_T2_PKT4_S3_PS5_PKS4_SA_21rocsparse_index_base_,comdat
.Lfunc_end15:
	.size	_ZN9rocsparseL24sddmm_coox_sample_kernelILi512ELb0E21rocsparse_complex_numIfEiiS2_EEvT3_S3_T2_PKT4_S3_PS5_PKS4_SA_21rocsparse_index_base_, .Lfunc_end15-_ZN9rocsparseL24sddmm_coox_sample_kernelILi512ELb0E21rocsparse_complex_numIfEiiS2_EEvT3_S3_T2_PKT4_S3_PS5_PKS4_SA_21rocsparse_index_base_
                                        ; -- End function
	.set _ZN9rocsparseL24sddmm_coox_sample_kernelILi512ELb0E21rocsparse_complex_numIfEiiS2_EEvT3_S3_T2_PKT4_S3_PS5_PKS4_SA_21rocsparse_index_base_.num_vgpr, 6
	.set _ZN9rocsparseL24sddmm_coox_sample_kernelILi512ELb0E21rocsparse_complex_numIfEiiS2_EEvT3_S3_T2_PKT4_S3_PS5_PKS4_SA_21rocsparse_index_base_.num_agpr, 0
	.set _ZN9rocsparseL24sddmm_coox_sample_kernelILi512ELb0E21rocsparse_complex_numIfEiiS2_EEvT3_S3_T2_PKT4_S3_PS5_PKS4_SA_21rocsparse_index_base_.numbered_sgpr, 14
	.set _ZN9rocsparseL24sddmm_coox_sample_kernelILi512ELb0E21rocsparse_complex_numIfEiiS2_EEvT3_S3_T2_PKT4_S3_PS5_PKS4_SA_21rocsparse_index_base_.num_named_barrier, 0
	.set _ZN9rocsparseL24sddmm_coox_sample_kernelILi512ELb0E21rocsparse_complex_numIfEiiS2_EEvT3_S3_T2_PKT4_S3_PS5_PKS4_SA_21rocsparse_index_base_.private_seg_size, 0
	.set _ZN9rocsparseL24sddmm_coox_sample_kernelILi512ELb0E21rocsparse_complex_numIfEiiS2_EEvT3_S3_T2_PKT4_S3_PS5_PKS4_SA_21rocsparse_index_base_.uses_vcc, 1
	.set _ZN9rocsparseL24sddmm_coox_sample_kernelILi512ELb0E21rocsparse_complex_numIfEiiS2_EEvT3_S3_T2_PKT4_S3_PS5_PKS4_SA_21rocsparse_index_base_.uses_flat_scratch, 0
	.set _ZN9rocsparseL24sddmm_coox_sample_kernelILi512ELb0E21rocsparse_complex_numIfEiiS2_EEvT3_S3_T2_PKT4_S3_PS5_PKS4_SA_21rocsparse_index_base_.has_dyn_sized_stack, 0
	.set _ZN9rocsparseL24sddmm_coox_sample_kernelILi512ELb0E21rocsparse_complex_numIfEiiS2_EEvT3_S3_T2_PKT4_S3_PS5_PKS4_SA_21rocsparse_index_base_.has_recursion, 0
	.set _ZN9rocsparseL24sddmm_coox_sample_kernelILi512ELb0E21rocsparse_complex_numIfEiiS2_EEvT3_S3_T2_PKT4_S3_PS5_PKS4_SA_21rocsparse_index_base_.has_indirect_call, 0
	.section	.AMDGPU.csdata,"",@progbits
; Kernel info:
; codeLenInByte = 308
; TotalNumSgprs: 16
; NumVgprs: 6
; ScratchSize: 0
; MemoryBound: 0
; FloatMode: 240
; IeeeMode: 1
; LDSByteSize: 0 bytes/workgroup (compile time only)
; SGPRBlocks: 0
; VGPRBlocks: 0
; NumSGPRsForWavesPerEU: 16
; NumVGPRsForWavesPerEU: 6
; Occupancy: 16
; WaveLimiterHint : 1
; COMPUTE_PGM_RSRC2:SCRATCH_EN: 0
; COMPUTE_PGM_RSRC2:USER_SGPR: 6
; COMPUTE_PGM_RSRC2:TRAP_HANDLER: 0
; COMPUTE_PGM_RSRC2:TGID_X_EN: 1
; COMPUTE_PGM_RSRC2:TGID_Y_EN: 0
; COMPUTE_PGM_RSRC2:TGID_Z_EN: 0
; COMPUTE_PGM_RSRC2:TIDIG_COMP_CNT: 0
	.section	.text._ZN9rocsparseL17sddmm_coox_kernelILi512ELi8ELb0E21rocsparse_complex_numIfEiiS2_S2_S2_EEv20rocsparse_operation_S3_16rocsparse_order_S4_T4_S5_S5_T3_NS_24const_host_device_scalarIT2_EEPKT5_lPKT6_lS9_PT7_PKS6_SJ_21rocsparse_index_base_b,"axG",@progbits,_ZN9rocsparseL17sddmm_coox_kernelILi512ELi8ELb0E21rocsparse_complex_numIfEiiS2_S2_S2_EEv20rocsparse_operation_S3_16rocsparse_order_S4_T4_S5_S5_T3_NS_24const_host_device_scalarIT2_EEPKT5_lPKT6_lS9_PT7_PKS6_SJ_21rocsparse_index_base_b,comdat
	.globl	_ZN9rocsparseL17sddmm_coox_kernelILi512ELi8ELb0E21rocsparse_complex_numIfEiiS2_S2_S2_EEv20rocsparse_operation_S3_16rocsparse_order_S4_T4_S5_S5_T3_NS_24const_host_device_scalarIT2_EEPKT5_lPKT6_lS9_PT7_PKS6_SJ_21rocsparse_index_base_b ; -- Begin function _ZN9rocsparseL17sddmm_coox_kernelILi512ELi8ELb0E21rocsparse_complex_numIfEiiS2_S2_S2_EEv20rocsparse_operation_S3_16rocsparse_order_S4_T4_S5_S5_T3_NS_24const_host_device_scalarIT2_EEPKT5_lPKT6_lS9_PT7_PKS6_SJ_21rocsparse_index_base_b
	.p2align	8
	.type	_ZN9rocsparseL17sddmm_coox_kernelILi512ELi8ELb0E21rocsparse_complex_numIfEiiS2_S2_S2_EEv20rocsparse_operation_S3_16rocsparse_order_S4_T4_S5_S5_T3_NS_24const_host_device_scalarIT2_EEPKT5_lPKT6_lS9_PT7_PKS6_SJ_21rocsparse_index_base_b,@function
_ZN9rocsparseL17sddmm_coox_kernelILi512ELi8ELb0E21rocsparse_complex_numIfEiiS2_S2_S2_EEv20rocsparse_operation_S3_16rocsparse_order_S4_T4_S5_S5_T3_NS_24const_host_device_scalarIT2_EEPKT5_lPKT6_lS9_PT7_PKS6_SJ_21rocsparse_index_base_b: ; @_ZN9rocsparseL17sddmm_coox_kernelILi512ELi8ELb0E21rocsparse_complex_numIfEiiS2_S2_S2_EEv20rocsparse_operation_S3_16rocsparse_order_S4_T4_S5_S5_T3_NS_24const_host_device_scalarIT2_EEPKT5_lPKT6_lS9_PT7_PKS6_SJ_21rocsparse_index_base_b
; %bb.0:
	s_clause 0x2
	s_load_dwordx2 s[12:13], s[4:5], 0x68
	s_load_dwordx2 s[0:1], s[4:5], 0x20
	s_load_dwordx4 s[8:11], s[4:5], 0x40
	s_add_u32 s2, s4, 32
	s_addc_u32 s3, s5, 0
	s_add_u32 s7, s4, 0x48
	s_addc_u32 s14, s5, 0
	s_waitcnt lgkmcnt(0)
	s_bitcmp1_b32 s13, 0
	s_cselect_b32 s0, s2, s0
	s_cselect_b32 s1, s3, s1
	v_mov_b32_e32 v1, s0
	v_mov_b32_e32 v2, s1
	s_cselect_b32 s0, s7, s10
	s_cselect_b32 s1, s14, s11
	v_mov_b32_e32 v3, s0
	v_mov_b32_e32 v4, s1
	flat_load_dwordx2 v[1:2], v[1:2]
	s_mov_b32 s0, -1
	s_mov_b32 s1, exec_lo
	flat_load_dwordx2 v[3:4], v[3:4]
	s_waitcnt vmcnt(1) lgkmcnt(1)
	v_or_b32_e32 v5, v1, v2
	v_and_b32_e32 v5, 0x7fffffff, v5
	v_cmpx_eq_u32_e32 0, v5
	s_cbranch_execz .LBB16_2
; %bb.1:
	s_waitcnt vmcnt(0) lgkmcnt(0)
	v_cmp_neq_f32_e32 vcc_lo, 1.0, v3
	v_cmp_neq_f32_e64 s0, 0, v4
	s_or_b32 s0, vcc_lo, s0
	s_orn2_b32 s0, s0, exec_lo
.LBB16_2:
	s_or_b32 exec_lo, exec_lo, s1
	s_and_saveexec_b32 s1, s0
	s_cbranch_execz .LBB16_32
; %bb.3:
	s_load_dwordx2 s[10:11], s[4:5], 0x18
	v_lshrrev_b32_e32 v13, 3, v0
	v_lshl_or_b32 v5, s6, 6, v13
	s_waitcnt lgkmcnt(0)
	v_cmp_gt_i32_e32 vcc_lo, s11, v5
	s_and_b32 exec_lo, exec_lo, vcc_lo
	s_cbranch_execz .LBB16_32
; %bb.4:
	s_load_dwordx4 s[0:3], s[4:5], 0x58
	v_ashrrev_i32_e32 v6, 31, v5
	v_lshlrev_b64 v[7:8], 2, v[5:6]
	s_waitcnt lgkmcnt(0)
	v_add_co_u32 v9, vcc_lo, s0, v7
	v_add_co_ci_u32_e64 v10, null, s1, v8, vcc_lo
	v_add_co_u32 v7, vcc_lo, s2, v7
	v_add_co_ci_u32_e64 v8, null, s3, v8, vcc_lo
	global_load_dword v9, v[9:10], off
	global_load_dword v11, v[7:8], off
	s_clause 0x1
	s_load_dwordx4 s[0:3], s[4:5], 0x0
	s_load_dwordx2 s[6:7], s[4:5], 0x30
	s_waitcnt lgkmcnt(0)
	s_cmp_eq_u32 s2, 1
	s_cselect_b32 s11, -1, 0
	s_cmpk_eq_i32 s0, 0x6f
	s_cselect_b32 s13, -1, 0
	s_cmpk_lg_i32 s0, 0x6f
	s_cselect_b32 s0, -1, 0
	s_cmp_lg_u32 s2, 1
	s_waitcnt vmcnt(1)
	v_subrev_nc_u32_e32 v9, s12, v9
	v_ashrrev_i32_e32 v10, 31, v9
	s_cbranch_scc0 .LBB16_8
; %bb.5:
	v_mov_b32_e32 v7, v9
	v_mov_b32_e32 v8, v10
	s_andn2_b32 vcc_lo, exec_lo, s13
	s_cbranch_vccnz .LBB16_7
; %bb.6:
	v_mul_lo_u32 v12, s7, v9
	v_mul_lo_u32 v14, s6, v10
	v_mad_u64_u32 v[7:8], null, s6, v9, 0
	v_add3_u32 v8, v8, v14, v12
.LBB16_7:
	s_cbranch_execz .LBB16_9
	s_branch .LBB16_12
.LBB16_8:
                                        ; implicit-def: $vgpr7_vgpr8
.LBB16_9:
	s_andn2_b32 vcc_lo, exec_lo, s0
	s_cbranch_vccnz .LBB16_11
; %bb.10:
	v_mul_lo_u32 v7, s7, v9
	v_mul_lo_u32 v8, s6, v10
	v_mad_u64_u32 v[9:10], null, s6, v9, 0
	v_add3_u32 v10, v10, v8, v7
.LBB16_11:
	v_mov_b32_e32 v7, v9
	v_mov_b32_e32 v8, v10
.LBB16_12:
	s_waitcnt vmcnt(0)
	v_subrev_nc_u32_e32 v9, s12, v11
	s_cmp_eq_u32 s3, 1
	s_cselect_b32 s7, -1, 0
	s_cmpk_eq_i32 s1, 0x6f
	v_ashrrev_i32_e32 v10, 31, v9
	s_cselect_b32 s12, -1, 0
	s_cmpk_lg_i32 s1, 0x6f
	s_cselect_b32 s0, -1, 0
	s_cmp_lg_u32 s3, 1
	s_cbranch_scc0 .LBB16_16
; %bb.13:
	v_mov_b32_e32 v12, v10
	v_mov_b32_e32 v11, v9
	s_andn2_b32 vcc_lo, exec_lo, s0
	s_cbranch_vccnz .LBB16_15
; %bb.14:
	v_mul_lo_u32 v14, s9, v9
	v_mul_lo_u32 v15, s8, v10
	v_mad_u64_u32 v[11:12], null, s8, v9, 0
	v_add3_u32 v12, v12, v15, v14
.LBB16_15:
	s_cbranch_execz .LBB16_17
	s_branch .LBB16_20
.LBB16_16:
                                        ; implicit-def: $vgpr11_vgpr12
.LBB16_17:
	s_andn2_b32 vcc_lo, exec_lo, s12
	s_cbranch_vccnz .LBB16_19
; %bb.18:
	v_mul_lo_u32 v11, s9, v9
	v_mul_lo_u32 v12, s8, v10
	v_mad_u64_u32 v[9:10], null, s8, v9, 0
	v_add3_u32 v10, v10, v12, v11
.LBB16_19:
	v_mov_b32_e32 v12, v10
	v_mov_b32_e32 v11, v9
.LBB16_20:
	s_load_dwordx2 s[0:1], s[4:5], 0x50
	v_and_b32_e32 v0, 7, v0
	v_mov_b32_e32 v10, 0
	v_mov_b32_e32 v9, 0
	s_mov_b32 s2, exec_lo
	v_cmpx_gt_i32_e64 s10, v0
	s_cbranch_execz .LBB16_24
; %bb.21:
	s_clause 0x1
	s_load_dwordx2 s[14:15], s[4:5], 0x38
	s_load_dwordx2 s[4:5], s[4:5], 0x28
	s_xor_b32 s3, s13, s11
	v_lshlrev_b64 v[14:15], 3, v[11:12]
	s_and_b32 s3, s3, exec_lo
	v_lshlrev_b64 v[8:9], 3, v[7:8]
	s_cselect_b32 s6, 1, s6
	s_xor_b32 s3, s12, s7
	v_mov_b32_e32 v10, 0
	s_and_b32 s3, s3, exec_lo
	s_cselect_b32 s3, s8, 1
	v_mul_lo_u32 v7, s6, v0
	v_mul_lo_u32 v11, s3, v0
	v_mov_b32_e32 v18, v0
	s_lshl_b32 s3, s3, 3
	s_waitcnt lgkmcnt(0)
	v_add_co_u32 v14, vcc_lo, s14, v14
	v_add_co_ci_u32_e64 v15, null, s15, v15, vcc_lo
	v_add_co_u32 v16, vcc_lo, s4, v8
	v_add_co_ci_u32_e64 v17, null, s5, v9, vcc_lo
	v_mov_b32_e32 v9, v10
	s_lshl_b32 s5, s6, 3
	s_mov_b32 s4, 0
	.p2align	6
.LBB16_22:                              ; =>This Inner Loop Header: Depth=1
	v_ashrrev_i32_e32 v8, 31, v7
	v_ashrrev_i32_e32 v12, 31, v11
	v_add_nc_u32_e32 v18, 8, v18
	v_lshlrev_b64 v[19:20], 3, v[7:8]
	v_lshlrev_b64 v[21:22], 3, v[11:12]
	v_add_nc_u32_e32 v11, s3, v11
	v_add_nc_u32_e32 v7, s5, v7
	v_add_co_u32 v19, vcc_lo, v16, v19
	v_add_co_ci_u32_e64 v20, null, v17, v20, vcc_lo
	v_add_co_u32 v21, vcc_lo, v14, v21
	v_add_co_ci_u32_e64 v22, null, v15, v22, vcc_lo
	global_load_dwordx2 v[19:20], v[19:20], off
	global_load_dwordx2 v[21:22], v[21:22], off
	v_cmp_le_i32_e32 vcc_lo, s10, v18
	s_or_b32 s4, vcc_lo, s4
	s_waitcnt vmcnt(0)
	v_mul_f32_e64 v8, v22, -v20
	v_mul_f32_e32 v12, v22, v19
	v_fmac_f32_e32 v8, v19, v21
	v_fmac_f32_e32 v12, v20, v21
	v_add_f32_e32 v9, v9, v8
	v_add_f32_e32 v10, v10, v12
	s_andn2_b32 exec_lo, exec_lo, s4
	s_cbranch_execnz .LBB16_22
; %bb.23:
	s_or_b32 exec_lo, exec_lo, s4
.LBB16_24:
	s_or_b32 exec_lo, exec_lo, s2
	v_lshlrev_b32_e32 v7, 6, v13
	s_mov_b32 s2, exec_lo
	v_lshl_or_b32 v8, v0, 3, v7
	ds_write_b64 v8, v[9:10]
	s_waitcnt lgkmcnt(0)
	s_barrier
	buffer_gl0_inv
	v_cmpx_gt_u32_e32 4, v0
	s_cbranch_execz .LBB16_26
; %bb.25:
	ds_read2_b64 v[9:12], v8 offset1:4
	s_waitcnt lgkmcnt(0)
	v_add_f32_e32 v9, v11, v9
	v_add_f32_e32 v10, v12, v10
	ds_write_b64 v8, v[9:10]
.LBB16_26:
	s_or_b32 exec_lo, exec_lo, s2
	s_mov_b32 s2, exec_lo
	s_waitcnt lgkmcnt(0)
	s_barrier
	buffer_gl0_inv
	v_cmpx_gt_u32_e32 2, v0
	s_cbranch_execz .LBB16_28
; %bb.27:
	ds_read2_b64 v[9:12], v8 offset1:2
	s_waitcnt lgkmcnt(0)
	v_add_f32_e32 v9, v11, v9
	v_add_f32_e32 v10, v12, v10
	ds_write_b64 v8, v[9:10]
.LBB16_28:
	s_or_b32 exec_lo, exec_lo, s2
	v_cmp_eq_u32_e32 vcc_lo, 0, v0
	s_waitcnt lgkmcnt(0)
	s_barrier
	buffer_gl0_inv
	s_and_saveexec_b32 s2, vcc_lo
	s_cbranch_execz .LBB16_30
; %bb.29:
	ds_read2_b64 v[9:12], v8 offset1:1
	s_waitcnt lgkmcnt(0)
	v_add_f32_e32 v9, v11, v9
	v_add_f32_e32 v10, v12, v10
	ds_write_b64 v8, v[9:10]
.LBB16_30:
	s_or_b32 exec_lo, exec_lo, s2
	s_waitcnt lgkmcnt(0)
	s_barrier
	buffer_gl0_inv
	s_and_b32 exec_lo, exec_lo, vcc_lo
	s_cbranch_execz .LBB16_32
; %bb.31:
	v_lshlrev_b64 v[5:6], 3, v[5:6]
	ds_read_b64 v[10:11], v7
	v_add_co_u32 v5, vcc_lo, s0, v5
	v_add_co_ci_u32_e64 v6, null, s1, v6, vcc_lo
	global_load_dwordx2 v[8:9], v[5:6], off
	s_waitcnt lgkmcnt(0)
	v_mul_f32_e64 v0, v11, -v2
	v_mul_f32_e32 v7, v11, v1
	v_fmac_f32_e32 v0, v1, v10
	v_fmac_f32_e32 v7, v2, v10
	s_waitcnt vmcnt(0)
	v_mul_f32_e64 v11, v4, -v9
	v_mul_f32_e32 v4, v4, v8
	v_fmac_f32_e32 v11, v8, v3
	v_fmac_f32_e32 v4, v9, v3
	v_add_f32_e32 v0, v0, v11
	v_add_f32_e32 v1, v7, v4
	global_store_dwordx2 v[5:6], v[0:1], off
.LBB16_32:
	s_endpgm
	.section	.rodata,"a",@progbits
	.p2align	6, 0x0
	.amdhsa_kernel _ZN9rocsparseL17sddmm_coox_kernelILi512ELi8ELb0E21rocsparse_complex_numIfEiiS2_S2_S2_EEv20rocsparse_operation_S3_16rocsparse_order_S4_T4_S5_S5_T3_NS_24const_host_device_scalarIT2_EEPKT5_lPKT6_lS9_PT7_PKS6_SJ_21rocsparse_index_base_b
		.amdhsa_group_segment_fixed_size 4096
		.amdhsa_private_segment_fixed_size 0
		.amdhsa_kernarg_size 112
		.amdhsa_user_sgpr_count 6
		.amdhsa_user_sgpr_private_segment_buffer 1
		.amdhsa_user_sgpr_dispatch_ptr 0
		.amdhsa_user_sgpr_queue_ptr 0
		.amdhsa_user_sgpr_kernarg_segment_ptr 1
		.amdhsa_user_sgpr_dispatch_id 0
		.amdhsa_user_sgpr_flat_scratch_init 0
		.amdhsa_user_sgpr_private_segment_size 0
		.amdhsa_wavefront_size32 1
		.amdhsa_uses_dynamic_stack 0
		.amdhsa_system_sgpr_private_segment_wavefront_offset 0
		.amdhsa_system_sgpr_workgroup_id_x 1
		.amdhsa_system_sgpr_workgroup_id_y 0
		.amdhsa_system_sgpr_workgroup_id_z 0
		.amdhsa_system_sgpr_workgroup_info 0
		.amdhsa_system_vgpr_workitem_id 0
		.amdhsa_next_free_vgpr 23
		.amdhsa_next_free_sgpr 16
		.amdhsa_reserve_vcc 1
		.amdhsa_reserve_flat_scratch 0
		.amdhsa_float_round_mode_32 0
		.amdhsa_float_round_mode_16_64 0
		.amdhsa_float_denorm_mode_32 3
		.amdhsa_float_denorm_mode_16_64 3
		.amdhsa_dx10_clamp 1
		.amdhsa_ieee_mode 1
		.amdhsa_fp16_overflow 0
		.amdhsa_workgroup_processor_mode 1
		.amdhsa_memory_ordered 1
		.amdhsa_forward_progress 1
		.amdhsa_shared_vgpr_count 0
		.amdhsa_exception_fp_ieee_invalid_op 0
		.amdhsa_exception_fp_denorm_src 0
		.amdhsa_exception_fp_ieee_div_zero 0
		.amdhsa_exception_fp_ieee_overflow 0
		.amdhsa_exception_fp_ieee_underflow 0
		.amdhsa_exception_fp_ieee_inexact 0
		.amdhsa_exception_int_div_zero 0
	.end_amdhsa_kernel
	.section	.text._ZN9rocsparseL17sddmm_coox_kernelILi512ELi8ELb0E21rocsparse_complex_numIfEiiS2_S2_S2_EEv20rocsparse_operation_S3_16rocsparse_order_S4_T4_S5_S5_T3_NS_24const_host_device_scalarIT2_EEPKT5_lPKT6_lS9_PT7_PKS6_SJ_21rocsparse_index_base_b,"axG",@progbits,_ZN9rocsparseL17sddmm_coox_kernelILi512ELi8ELb0E21rocsparse_complex_numIfEiiS2_S2_S2_EEv20rocsparse_operation_S3_16rocsparse_order_S4_T4_S5_S5_T3_NS_24const_host_device_scalarIT2_EEPKT5_lPKT6_lS9_PT7_PKS6_SJ_21rocsparse_index_base_b,comdat
.Lfunc_end16:
	.size	_ZN9rocsparseL17sddmm_coox_kernelILi512ELi8ELb0E21rocsparse_complex_numIfEiiS2_S2_S2_EEv20rocsparse_operation_S3_16rocsparse_order_S4_T4_S5_S5_T3_NS_24const_host_device_scalarIT2_EEPKT5_lPKT6_lS9_PT7_PKS6_SJ_21rocsparse_index_base_b, .Lfunc_end16-_ZN9rocsparseL17sddmm_coox_kernelILi512ELi8ELb0E21rocsparse_complex_numIfEiiS2_S2_S2_EEv20rocsparse_operation_S3_16rocsparse_order_S4_T4_S5_S5_T3_NS_24const_host_device_scalarIT2_EEPKT5_lPKT6_lS9_PT7_PKS6_SJ_21rocsparse_index_base_b
                                        ; -- End function
	.set _ZN9rocsparseL17sddmm_coox_kernelILi512ELi8ELb0E21rocsparse_complex_numIfEiiS2_S2_S2_EEv20rocsparse_operation_S3_16rocsparse_order_S4_T4_S5_S5_T3_NS_24const_host_device_scalarIT2_EEPKT5_lPKT6_lS9_PT7_PKS6_SJ_21rocsparse_index_base_b.num_vgpr, 23
	.set _ZN9rocsparseL17sddmm_coox_kernelILi512ELi8ELb0E21rocsparse_complex_numIfEiiS2_S2_S2_EEv20rocsparse_operation_S3_16rocsparse_order_S4_T4_S5_S5_T3_NS_24const_host_device_scalarIT2_EEPKT5_lPKT6_lS9_PT7_PKS6_SJ_21rocsparse_index_base_b.num_agpr, 0
	.set _ZN9rocsparseL17sddmm_coox_kernelILi512ELi8ELb0E21rocsparse_complex_numIfEiiS2_S2_S2_EEv20rocsparse_operation_S3_16rocsparse_order_S4_T4_S5_S5_T3_NS_24const_host_device_scalarIT2_EEPKT5_lPKT6_lS9_PT7_PKS6_SJ_21rocsparse_index_base_b.numbered_sgpr, 16
	.set _ZN9rocsparseL17sddmm_coox_kernelILi512ELi8ELb0E21rocsparse_complex_numIfEiiS2_S2_S2_EEv20rocsparse_operation_S3_16rocsparse_order_S4_T4_S5_S5_T3_NS_24const_host_device_scalarIT2_EEPKT5_lPKT6_lS9_PT7_PKS6_SJ_21rocsparse_index_base_b.num_named_barrier, 0
	.set _ZN9rocsparseL17sddmm_coox_kernelILi512ELi8ELb0E21rocsparse_complex_numIfEiiS2_S2_S2_EEv20rocsparse_operation_S3_16rocsparse_order_S4_T4_S5_S5_T3_NS_24const_host_device_scalarIT2_EEPKT5_lPKT6_lS9_PT7_PKS6_SJ_21rocsparse_index_base_b.private_seg_size, 0
	.set _ZN9rocsparseL17sddmm_coox_kernelILi512ELi8ELb0E21rocsparse_complex_numIfEiiS2_S2_S2_EEv20rocsparse_operation_S3_16rocsparse_order_S4_T4_S5_S5_T3_NS_24const_host_device_scalarIT2_EEPKT5_lPKT6_lS9_PT7_PKS6_SJ_21rocsparse_index_base_b.uses_vcc, 1
	.set _ZN9rocsparseL17sddmm_coox_kernelILi512ELi8ELb0E21rocsparse_complex_numIfEiiS2_S2_S2_EEv20rocsparse_operation_S3_16rocsparse_order_S4_T4_S5_S5_T3_NS_24const_host_device_scalarIT2_EEPKT5_lPKT6_lS9_PT7_PKS6_SJ_21rocsparse_index_base_b.uses_flat_scratch, 0
	.set _ZN9rocsparseL17sddmm_coox_kernelILi512ELi8ELb0E21rocsparse_complex_numIfEiiS2_S2_S2_EEv20rocsparse_operation_S3_16rocsparse_order_S4_T4_S5_S5_T3_NS_24const_host_device_scalarIT2_EEPKT5_lPKT6_lS9_PT7_PKS6_SJ_21rocsparse_index_base_b.has_dyn_sized_stack, 0
	.set _ZN9rocsparseL17sddmm_coox_kernelILi512ELi8ELb0E21rocsparse_complex_numIfEiiS2_S2_S2_EEv20rocsparse_operation_S3_16rocsparse_order_S4_T4_S5_S5_T3_NS_24const_host_device_scalarIT2_EEPKT5_lPKT6_lS9_PT7_PKS6_SJ_21rocsparse_index_base_b.has_recursion, 0
	.set _ZN9rocsparseL17sddmm_coox_kernelILi512ELi8ELb0E21rocsparse_complex_numIfEiiS2_S2_S2_EEv20rocsparse_operation_S3_16rocsparse_order_S4_T4_S5_S5_T3_NS_24const_host_device_scalarIT2_EEPKT5_lPKT6_lS9_PT7_PKS6_SJ_21rocsparse_index_base_b.has_indirect_call, 0
	.section	.AMDGPU.csdata,"",@progbits
; Kernel info:
; codeLenInByte = 1304
; TotalNumSgprs: 18
; NumVgprs: 23
; ScratchSize: 0
; MemoryBound: 0
; FloatMode: 240
; IeeeMode: 1
; LDSByteSize: 4096 bytes/workgroup (compile time only)
; SGPRBlocks: 0
; VGPRBlocks: 2
; NumSGPRsForWavesPerEU: 18
; NumVGPRsForWavesPerEU: 23
; Occupancy: 16
; WaveLimiterHint : 0
; COMPUTE_PGM_RSRC2:SCRATCH_EN: 0
; COMPUTE_PGM_RSRC2:USER_SGPR: 6
; COMPUTE_PGM_RSRC2:TRAP_HANDLER: 0
; COMPUTE_PGM_RSRC2:TGID_X_EN: 1
; COMPUTE_PGM_RSRC2:TGID_Y_EN: 0
; COMPUTE_PGM_RSRC2:TGID_Z_EN: 0
; COMPUTE_PGM_RSRC2:TIDIG_COMP_CNT: 0
	.section	.text._ZN9rocsparseL17sddmm_coox_kernelILi512ELi4ELb0E21rocsparse_complex_numIfEiiS2_S2_S2_EEv20rocsparse_operation_S3_16rocsparse_order_S4_T4_S5_S5_T3_NS_24const_host_device_scalarIT2_EEPKT5_lPKT6_lS9_PT7_PKS6_SJ_21rocsparse_index_base_b,"axG",@progbits,_ZN9rocsparseL17sddmm_coox_kernelILi512ELi4ELb0E21rocsparse_complex_numIfEiiS2_S2_S2_EEv20rocsparse_operation_S3_16rocsparse_order_S4_T4_S5_S5_T3_NS_24const_host_device_scalarIT2_EEPKT5_lPKT6_lS9_PT7_PKS6_SJ_21rocsparse_index_base_b,comdat
	.globl	_ZN9rocsparseL17sddmm_coox_kernelILi512ELi4ELb0E21rocsparse_complex_numIfEiiS2_S2_S2_EEv20rocsparse_operation_S3_16rocsparse_order_S4_T4_S5_S5_T3_NS_24const_host_device_scalarIT2_EEPKT5_lPKT6_lS9_PT7_PKS6_SJ_21rocsparse_index_base_b ; -- Begin function _ZN9rocsparseL17sddmm_coox_kernelILi512ELi4ELb0E21rocsparse_complex_numIfEiiS2_S2_S2_EEv20rocsparse_operation_S3_16rocsparse_order_S4_T4_S5_S5_T3_NS_24const_host_device_scalarIT2_EEPKT5_lPKT6_lS9_PT7_PKS6_SJ_21rocsparse_index_base_b
	.p2align	8
	.type	_ZN9rocsparseL17sddmm_coox_kernelILi512ELi4ELb0E21rocsparse_complex_numIfEiiS2_S2_S2_EEv20rocsparse_operation_S3_16rocsparse_order_S4_T4_S5_S5_T3_NS_24const_host_device_scalarIT2_EEPKT5_lPKT6_lS9_PT7_PKS6_SJ_21rocsparse_index_base_b,@function
_ZN9rocsparseL17sddmm_coox_kernelILi512ELi4ELb0E21rocsparse_complex_numIfEiiS2_S2_S2_EEv20rocsparse_operation_S3_16rocsparse_order_S4_T4_S5_S5_T3_NS_24const_host_device_scalarIT2_EEPKT5_lPKT6_lS9_PT7_PKS6_SJ_21rocsparse_index_base_b: ; @_ZN9rocsparseL17sddmm_coox_kernelILi512ELi4ELb0E21rocsparse_complex_numIfEiiS2_S2_S2_EEv20rocsparse_operation_S3_16rocsparse_order_S4_T4_S5_S5_T3_NS_24const_host_device_scalarIT2_EEPKT5_lPKT6_lS9_PT7_PKS6_SJ_21rocsparse_index_base_b
; %bb.0:
	s_clause 0x2
	s_load_dwordx2 s[12:13], s[4:5], 0x68
	s_load_dwordx2 s[0:1], s[4:5], 0x20
	s_load_dwordx4 s[8:11], s[4:5], 0x40
	s_add_u32 s2, s4, 32
	s_addc_u32 s3, s5, 0
	s_add_u32 s7, s4, 0x48
	s_addc_u32 s14, s5, 0
	s_waitcnt lgkmcnt(0)
	s_bitcmp1_b32 s13, 0
	s_cselect_b32 s0, s2, s0
	s_cselect_b32 s1, s3, s1
	v_mov_b32_e32 v1, s0
	v_mov_b32_e32 v2, s1
	s_cselect_b32 s0, s7, s10
	s_cselect_b32 s1, s14, s11
	v_mov_b32_e32 v3, s0
	v_mov_b32_e32 v4, s1
	flat_load_dwordx2 v[1:2], v[1:2]
	s_mov_b32 s0, -1
	s_mov_b32 s1, exec_lo
	flat_load_dwordx2 v[3:4], v[3:4]
	s_waitcnt vmcnt(1) lgkmcnt(1)
	v_or_b32_e32 v5, v1, v2
	v_and_b32_e32 v5, 0x7fffffff, v5
	v_cmpx_eq_u32_e32 0, v5
	s_cbranch_execz .LBB17_2
; %bb.1:
	s_waitcnt vmcnt(0) lgkmcnt(0)
	v_cmp_neq_f32_e32 vcc_lo, 1.0, v3
	v_cmp_neq_f32_e64 s0, 0, v4
	s_or_b32 s0, vcc_lo, s0
	s_orn2_b32 s0, s0, exec_lo
.LBB17_2:
	s_or_b32 exec_lo, exec_lo, s1
	s_and_saveexec_b32 s1, s0
	s_cbranch_execz .LBB17_30
; %bb.3:
	s_load_dwordx2 s[10:11], s[4:5], 0x18
	v_lshrrev_b32_e32 v13, 2, v0
	v_lshl_or_b32 v5, s6, 7, v13
	s_waitcnt lgkmcnt(0)
	v_cmp_gt_i32_e32 vcc_lo, s11, v5
	s_and_b32 exec_lo, exec_lo, vcc_lo
	s_cbranch_execz .LBB17_30
; %bb.4:
	s_load_dwordx4 s[0:3], s[4:5], 0x58
	v_ashrrev_i32_e32 v6, 31, v5
	v_lshlrev_b64 v[7:8], 2, v[5:6]
	s_waitcnt lgkmcnt(0)
	v_add_co_u32 v9, vcc_lo, s0, v7
	v_add_co_ci_u32_e64 v10, null, s1, v8, vcc_lo
	v_add_co_u32 v7, vcc_lo, s2, v7
	v_add_co_ci_u32_e64 v8, null, s3, v8, vcc_lo
	global_load_dword v9, v[9:10], off
	global_load_dword v11, v[7:8], off
	s_clause 0x1
	s_load_dwordx4 s[0:3], s[4:5], 0x0
	s_load_dwordx2 s[6:7], s[4:5], 0x30
	s_waitcnt lgkmcnt(0)
	s_cmp_eq_u32 s2, 1
	s_cselect_b32 s11, -1, 0
	s_cmpk_eq_i32 s0, 0x6f
	s_cselect_b32 s13, -1, 0
	s_cmpk_lg_i32 s0, 0x6f
	s_cselect_b32 s0, -1, 0
	s_cmp_lg_u32 s2, 1
	s_waitcnt vmcnt(1)
	v_subrev_nc_u32_e32 v9, s12, v9
	v_ashrrev_i32_e32 v10, 31, v9
	s_cbranch_scc0 .LBB17_8
; %bb.5:
	v_mov_b32_e32 v7, v9
	v_mov_b32_e32 v8, v10
	s_andn2_b32 vcc_lo, exec_lo, s13
	s_cbranch_vccnz .LBB17_7
; %bb.6:
	v_mul_lo_u32 v12, s7, v9
	v_mul_lo_u32 v14, s6, v10
	v_mad_u64_u32 v[7:8], null, s6, v9, 0
	v_add3_u32 v8, v8, v14, v12
.LBB17_7:
	s_cbranch_execz .LBB17_9
	s_branch .LBB17_12
.LBB17_8:
                                        ; implicit-def: $vgpr7_vgpr8
.LBB17_9:
	s_andn2_b32 vcc_lo, exec_lo, s0
	s_cbranch_vccnz .LBB17_11
; %bb.10:
	v_mul_lo_u32 v7, s7, v9
	v_mul_lo_u32 v8, s6, v10
	v_mad_u64_u32 v[9:10], null, s6, v9, 0
	v_add3_u32 v10, v10, v8, v7
.LBB17_11:
	v_mov_b32_e32 v7, v9
	v_mov_b32_e32 v8, v10
.LBB17_12:
	s_waitcnt vmcnt(0)
	v_subrev_nc_u32_e32 v9, s12, v11
	s_cmp_eq_u32 s3, 1
	s_cselect_b32 s7, -1, 0
	s_cmpk_eq_i32 s1, 0x6f
	v_ashrrev_i32_e32 v10, 31, v9
	s_cselect_b32 s12, -1, 0
	s_cmpk_lg_i32 s1, 0x6f
	s_cselect_b32 s0, -1, 0
	s_cmp_lg_u32 s3, 1
	s_cbranch_scc0 .LBB17_16
; %bb.13:
	v_mov_b32_e32 v12, v10
	v_mov_b32_e32 v11, v9
	s_andn2_b32 vcc_lo, exec_lo, s0
	s_cbranch_vccnz .LBB17_15
; %bb.14:
	v_mul_lo_u32 v14, s9, v9
	v_mul_lo_u32 v15, s8, v10
	v_mad_u64_u32 v[11:12], null, s8, v9, 0
	v_add3_u32 v12, v12, v15, v14
.LBB17_15:
	s_cbranch_execz .LBB17_17
	s_branch .LBB17_20
.LBB17_16:
                                        ; implicit-def: $vgpr11_vgpr12
.LBB17_17:
	s_andn2_b32 vcc_lo, exec_lo, s12
	s_cbranch_vccnz .LBB17_19
; %bb.18:
	v_mul_lo_u32 v11, s9, v9
	v_mul_lo_u32 v12, s8, v10
	v_mad_u64_u32 v[9:10], null, s8, v9, 0
	v_add3_u32 v10, v10, v12, v11
.LBB17_19:
	v_mov_b32_e32 v12, v10
	v_mov_b32_e32 v11, v9
.LBB17_20:
	s_load_dwordx2 s[0:1], s[4:5], 0x50
	v_and_b32_e32 v0, 3, v0
	v_mov_b32_e32 v10, 0
	v_mov_b32_e32 v9, 0
	s_mov_b32 s2, exec_lo
	v_cmpx_gt_i32_e64 s10, v0
	s_cbranch_execz .LBB17_24
; %bb.21:
	s_clause 0x1
	s_load_dwordx2 s[14:15], s[4:5], 0x38
	s_load_dwordx2 s[4:5], s[4:5], 0x28
	s_xor_b32 s3, s13, s11
	v_lshlrev_b64 v[14:15], 3, v[11:12]
	s_and_b32 s3, s3, exec_lo
	v_lshlrev_b64 v[8:9], 3, v[7:8]
	s_cselect_b32 s6, 1, s6
	s_xor_b32 s3, s12, s7
	v_mov_b32_e32 v10, 0
	s_and_b32 s3, s3, exec_lo
	s_cselect_b32 s3, s8, 1
	v_mul_lo_u32 v7, s6, v0
	v_mul_lo_u32 v11, s3, v0
	v_mov_b32_e32 v18, v0
	s_lshl_b32 s3, s3, 2
	s_waitcnt lgkmcnt(0)
	v_add_co_u32 v14, vcc_lo, s14, v14
	v_add_co_ci_u32_e64 v15, null, s15, v15, vcc_lo
	v_add_co_u32 v16, vcc_lo, s4, v8
	v_add_co_ci_u32_e64 v17, null, s5, v9, vcc_lo
	v_mov_b32_e32 v9, v10
	s_lshl_b32 s5, s6, 2
	s_mov_b32 s4, 0
	.p2align	6
.LBB17_22:                              ; =>This Inner Loop Header: Depth=1
	v_ashrrev_i32_e32 v8, 31, v7
	v_ashrrev_i32_e32 v12, 31, v11
	v_add_nc_u32_e32 v18, 4, v18
	v_lshlrev_b64 v[19:20], 3, v[7:8]
	v_lshlrev_b64 v[21:22], 3, v[11:12]
	v_add_nc_u32_e32 v11, s3, v11
	v_add_nc_u32_e32 v7, s5, v7
	v_add_co_u32 v19, vcc_lo, v16, v19
	v_add_co_ci_u32_e64 v20, null, v17, v20, vcc_lo
	v_add_co_u32 v21, vcc_lo, v14, v21
	v_add_co_ci_u32_e64 v22, null, v15, v22, vcc_lo
	global_load_dwordx2 v[19:20], v[19:20], off
	global_load_dwordx2 v[21:22], v[21:22], off
	v_cmp_le_i32_e32 vcc_lo, s10, v18
	s_or_b32 s4, vcc_lo, s4
	s_waitcnt vmcnt(0)
	v_mul_f32_e64 v8, v22, -v20
	v_mul_f32_e32 v12, v22, v19
	v_fmac_f32_e32 v8, v19, v21
	v_fmac_f32_e32 v12, v20, v21
	v_add_f32_e32 v9, v9, v8
	v_add_f32_e32 v10, v10, v12
	s_andn2_b32 exec_lo, exec_lo, s4
	s_cbranch_execnz .LBB17_22
; %bb.23:
	s_or_b32 exec_lo, exec_lo, s4
.LBB17_24:
	s_or_b32 exec_lo, exec_lo, s2
	v_lshlrev_b32_e32 v7, 5, v13
	s_mov_b32 s2, exec_lo
	v_lshl_or_b32 v8, v0, 3, v7
	ds_write_b64 v8, v[9:10]
	s_waitcnt lgkmcnt(0)
	s_barrier
	buffer_gl0_inv
	v_cmpx_gt_u32_e32 2, v0
	s_cbranch_execz .LBB17_26
; %bb.25:
	ds_read2_b64 v[9:12], v8 offset1:2
	s_waitcnt lgkmcnt(0)
	v_add_f32_e32 v9, v11, v9
	v_add_f32_e32 v10, v12, v10
	ds_write_b64 v8, v[9:10]
.LBB17_26:
	s_or_b32 exec_lo, exec_lo, s2
	v_cmp_eq_u32_e32 vcc_lo, 0, v0
	s_waitcnt lgkmcnt(0)
	s_barrier
	buffer_gl0_inv
	s_and_saveexec_b32 s2, vcc_lo
	s_cbranch_execz .LBB17_28
; %bb.27:
	ds_read2_b64 v[9:12], v8 offset1:1
	s_waitcnt lgkmcnt(0)
	v_add_f32_e32 v9, v11, v9
	v_add_f32_e32 v10, v12, v10
	ds_write_b64 v8, v[9:10]
.LBB17_28:
	s_or_b32 exec_lo, exec_lo, s2
	s_waitcnt lgkmcnt(0)
	s_barrier
	buffer_gl0_inv
	s_and_b32 exec_lo, exec_lo, vcc_lo
	s_cbranch_execz .LBB17_30
; %bb.29:
	v_lshlrev_b64 v[5:6], 3, v[5:6]
	ds_read_b64 v[10:11], v7
	v_add_co_u32 v5, vcc_lo, s0, v5
	v_add_co_ci_u32_e64 v6, null, s1, v6, vcc_lo
	global_load_dwordx2 v[8:9], v[5:6], off
	s_waitcnt lgkmcnt(0)
	v_mul_f32_e64 v0, v11, -v2
	v_mul_f32_e32 v7, v11, v1
	v_fmac_f32_e32 v0, v1, v10
	v_fmac_f32_e32 v7, v2, v10
	s_waitcnt vmcnt(0)
	v_mul_f32_e64 v11, v4, -v9
	v_mul_f32_e32 v4, v4, v8
	v_fmac_f32_e32 v11, v8, v3
	v_fmac_f32_e32 v4, v9, v3
	v_add_f32_e32 v0, v0, v11
	v_add_f32_e32 v1, v7, v4
	global_store_dwordx2 v[5:6], v[0:1], off
.LBB17_30:
	s_endpgm
	.section	.rodata,"a",@progbits
	.p2align	6, 0x0
	.amdhsa_kernel _ZN9rocsparseL17sddmm_coox_kernelILi512ELi4ELb0E21rocsparse_complex_numIfEiiS2_S2_S2_EEv20rocsparse_operation_S3_16rocsparse_order_S4_T4_S5_S5_T3_NS_24const_host_device_scalarIT2_EEPKT5_lPKT6_lS9_PT7_PKS6_SJ_21rocsparse_index_base_b
		.amdhsa_group_segment_fixed_size 4096
		.amdhsa_private_segment_fixed_size 0
		.amdhsa_kernarg_size 112
		.amdhsa_user_sgpr_count 6
		.amdhsa_user_sgpr_private_segment_buffer 1
		.amdhsa_user_sgpr_dispatch_ptr 0
		.amdhsa_user_sgpr_queue_ptr 0
		.amdhsa_user_sgpr_kernarg_segment_ptr 1
		.amdhsa_user_sgpr_dispatch_id 0
		.amdhsa_user_sgpr_flat_scratch_init 0
		.amdhsa_user_sgpr_private_segment_size 0
		.amdhsa_wavefront_size32 1
		.amdhsa_uses_dynamic_stack 0
		.amdhsa_system_sgpr_private_segment_wavefront_offset 0
		.amdhsa_system_sgpr_workgroup_id_x 1
		.amdhsa_system_sgpr_workgroup_id_y 0
		.amdhsa_system_sgpr_workgroup_id_z 0
		.amdhsa_system_sgpr_workgroup_info 0
		.amdhsa_system_vgpr_workitem_id 0
		.amdhsa_next_free_vgpr 23
		.amdhsa_next_free_sgpr 16
		.amdhsa_reserve_vcc 1
		.amdhsa_reserve_flat_scratch 0
		.amdhsa_float_round_mode_32 0
		.amdhsa_float_round_mode_16_64 0
		.amdhsa_float_denorm_mode_32 3
		.amdhsa_float_denorm_mode_16_64 3
		.amdhsa_dx10_clamp 1
		.amdhsa_ieee_mode 1
		.amdhsa_fp16_overflow 0
		.amdhsa_workgroup_processor_mode 1
		.amdhsa_memory_ordered 1
		.amdhsa_forward_progress 1
		.amdhsa_shared_vgpr_count 0
		.amdhsa_exception_fp_ieee_invalid_op 0
		.amdhsa_exception_fp_denorm_src 0
		.amdhsa_exception_fp_ieee_div_zero 0
		.amdhsa_exception_fp_ieee_overflow 0
		.amdhsa_exception_fp_ieee_underflow 0
		.amdhsa_exception_fp_ieee_inexact 0
		.amdhsa_exception_int_div_zero 0
	.end_amdhsa_kernel
	.section	.text._ZN9rocsparseL17sddmm_coox_kernelILi512ELi4ELb0E21rocsparse_complex_numIfEiiS2_S2_S2_EEv20rocsparse_operation_S3_16rocsparse_order_S4_T4_S5_S5_T3_NS_24const_host_device_scalarIT2_EEPKT5_lPKT6_lS9_PT7_PKS6_SJ_21rocsparse_index_base_b,"axG",@progbits,_ZN9rocsparseL17sddmm_coox_kernelILi512ELi4ELb0E21rocsparse_complex_numIfEiiS2_S2_S2_EEv20rocsparse_operation_S3_16rocsparse_order_S4_T4_S5_S5_T3_NS_24const_host_device_scalarIT2_EEPKT5_lPKT6_lS9_PT7_PKS6_SJ_21rocsparse_index_base_b,comdat
.Lfunc_end17:
	.size	_ZN9rocsparseL17sddmm_coox_kernelILi512ELi4ELb0E21rocsparse_complex_numIfEiiS2_S2_S2_EEv20rocsparse_operation_S3_16rocsparse_order_S4_T4_S5_S5_T3_NS_24const_host_device_scalarIT2_EEPKT5_lPKT6_lS9_PT7_PKS6_SJ_21rocsparse_index_base_b, .Lfunc_end17-_ZN9rocsparseL17sddmm_coox_kernelILi512ELi4ELb0E21rocsparse_complex_numIfEiiS2_S2_S2_EEv20rocsparse_operation_S3_16rocsparse_order_S4_T4_S5_S5_T3_NS_24const_host_device_scalarIT2_EEPKT5_lPKT6_lS9_PT7_PKS6_SJ_21rocsparse_index_base_b
                                        ; -- End function
	.set _ZN9rocsparseL17sddmm_coox_kernelILi512ELi4ELb0E21rocsparse_complex_numIfEiiS2_S2_S2_EEv20rocsparse_operation_S3_16rocsparse_order_S4_T4_S5_S5_T3_NS_24const_host_device_scalarIT2_EEPKT5_lPKT6_lS9_PT7_PKS6_SJ_21rocsparse_index_base_b.num_vgpr, 23
	.set _ZN9rocsparseL17sddmm_coox_kernelILi512ELi4ELb0E21rocsparse_complex_numIfEiiS2_S2_S2_EEv20rocsparse_operation_S3_16rocsparse_order_S4_T4_S5_S5_T3_NS_24const_host_device_scalarIT2_EEPKT5_lPKT6_lS9_PT7_PKS6_SJ_21rocsparse_index_base_b.num_agpr, 0
	.set _ZN9rocsparseL17sddmm_coox_kernelILi512ELi4ELb0E21rocsparse_complex_numIfEiiS2_S2_S2_EEv20rocsparse_operation_S3_16rocsparse_order_S4_T4_S5_S5_T3_NS_24const_host_device_scalarIT2_EEPKT5_lPKT6_lS9_PT7_PKS6_SJ_21rocsparse_index_base_b.numbered_sgpr, 16
	.set _ZN9rocsparseL17sddmm_coox_kernelILi512ELi4ELb0E21rocsparse_complex_numIfEiiS2_S2_S2_EEv20rocsparse_operation_S3_16rocsparse_order_S4_T4_S5_S5_T3_NS_24const_host_device_scalarIT2_EEPKT5_lPKT6_lS9_PT7_PKS6_SJ_21rocsparse_index_base_b.num_named_barrier, 0
	.set _ZN9rocsparseL17sddmm_coox_kernelILi512ELi4ELb0E21rocsparse_complex_numIfEiiS2_S2_S2_EEv20rocsparse_operation_S3_16rocsparse_order_S4_T4_S5_S5_T3_NS_24const_host_device_scalarIT2_EEPKT5_lPKT6_lS9_PT7_PKS6_SJ_21rocsparse_index_base_b.private_seg_size, 0
	.set _ZN9rocsparseL17sddmm_coox_kernelILi512ELi4ELb0E21rocsparse_complex_numIfEiiS2_S2_S2_EEv20rocsparse_operation_S3_16rocsparse_order_S4_T4_S5_S5_T3_NS_24const_host_device_scalarIT2_EEPKT5_lPKT6_lS9_PT7_PKS6_SJ_21rocsparse_index_base_b.uses_vcc, 1
	.set _ZN9rocsparseL17sddmm_coox_kernelILi512ELi4ELb0E21rocsparse_complex_numIfEiiS2_S2_S2_EEv20rocsparse_operation_S3_16rocsparse_order_S4_T4_S5_S5_T3_NS_24const_host_device_scalarIT2_EEPKT5_lPKT6_lS9_PT7_PKS6_SJ_21rocsparse_index_base_b.uses_flat_scratch, 0
	.set _ZN9rocsparseL17sddmm_coox_kernelILi512ELi4ELb0E21rocsparse_complex_numIfEiiS2_S2_S2_EEv20rocsparse_operation_S3_16rocsparse_order_S4_T4_S5_S5_T3_NS_24const_host_device_scalarIT2_EEPKT5_lPKT6_lS9_PT7_PKS6_SJ_21rocsparse_index_base_b.has_dyn_sized_stack, 0
	.set _ZN9rocsparseL17sddmm_coox_kernelILi512ELi4ELb0E21rocsparse_complex_numIfEiiS2_S2_S2_EEv20rocsparse_operation_S3_16rocsparse_order_S4_T4_S5_S5_T3_NS_24const_host_device_scalarIT2_EEPKT5_lPKT6_lS9_PT7_PKS6_SJ_21rocsparse_index_base_b.has_recursion, 0
	.set _ZN9rocsparseL17sddmm_coox_kernelILi512ELi4ELb0E21rocsparse_complex_numIfEiiS2_S2_S2_EEv20rocsparse_operation_S3_16rocsparse_order_S4_T4_S5_S5_T3_NS_24const_host_device_scalarIT2_EEPKT5_lPKT6_lS9_PT7_PKS6_SJ_21rocsparse_index_base_b.has_indirect_call, 0
	.section	.AMDGPU.csdata,"",@progbits
; Kernel info:
; codeLenInByte = 1244
; TotalNumSgprs: 18
; NumVgprs: 23
; ScratchSize: 0
; MemoryBound: 0
; FloatMode: 240
; IeeeMode: 1
; LDSByteSize: 4096 bytes/workgroup (compile time only)
; SGPRBlocks: 0
; VGPRBlocks: 2
; NumSGPRsForWavesPerEU: 18
; NumVGPRsForWavesPerEU: 23
; Occupancy: 16
; WaveLimiterHint : 0
; COMPUTE_PGM_RSRC2:SCRATCH_EN: 0
; COMPUTE_PGM_RSRC2:USER_SGPR: 6
; COMPUTE_PGM_RSRC2:TRAP_HANDLER: 0
; COMPUTE_PGM_RSRC2:TGID_X_EN: 1
; COMPUTE_PGM_RSRC2:TGID_Y_EN: 0
; COMPUTE_PGM_RSRC2:TGID_Z_EN: 0
; COMPUTE_PGM_RSRC2:TIDIG_COMP_CNT: 0
	.section	.text._ZN9rocsparseL17sddmm_coox_kernelILi512ELi2ELb0E21rocsparse_complex_numIfEiiS2_S2_S2_EEv20rocsparse_operation_S3_16rocsparse_order_S4_T4_S5_S5_T3_NS_24const_host_device_scalarIT2_EEPKT5_lPKT6_lS9_PT7_PKS6_SJ_21rocsparse_index_base_b,"axG",@progbits,_ZN9rocsparseL17sddmm_coox_kernelILi512ELi2ELb0E21rocsparse_complex_numIfEiiS2_S2_S2_EEv20rocsparse_operation_S3_16rocsparse_order_S4_T4_S5_S5_T3_NS_24const_host_device_scalarIT2_EEPKT5_lPKT6_lS9_PT7_PKS6_SJ_21rocsparse_index_base_b,comdat
	.globl	_ZN9rocsparseL17sddmm_coox_kernelILi512ELi2ELb0E21rocsparse_complex_numIfEiiS2_S2_S2_EEv20rocsparse_operation_S3_16rocsparse_order_S4_T4_S5_S5_T3_NS_24const_host_device_scalarIT2_EEPKT5_lPKT6_lS9_PT7_PKS6_SJ_21rocsparse_index_base_b ; -- Begin function _ZN9rocsparseL17sddmm_coox_kernelILi512ELi2ELb0E21rocsparse_complex_numIfEiiS2_S2_S2_EEv20rocsparse_operation_S3_16rocsparse_order_S4_T4_S5_S5_T3_NS_24const_host_device_scalarIT2_EEPKT5_lPKT6_lS9_PT7_PKS6_SJ_21rocsparse_index_base_b
	.p2align	8
	.type	_ZN9rocsparseL17sddmm_coox_kernelILi512ELi2ELb0E21rocsparse_complex_numIfEiiS2_S2_S2_EEv20rocsparse_operation_S3_16rocsparse_order_S4_T4_S5_S5_T3_NS_24const_host_device_scalarIT2_EEPKT5_lPKT6_lS9_PT7_PKS6_SJ_21rocsparse_index_base_b,@function
_ZN9rocsparseL17sddmm_coox_kernelILi512ELi2ELb0E21rocsparse_complex_numIfEiiS2_S2_S2_EEv20rocsparse_operation_S3_16rocsparse_order_S4_T4_S5_S5_T3_NS_24const_host_device_scalarIT2_EEPKT5_lPKT6_lS9_PT7_PKS6_SJ_21rocsparse_index_base_b: ; @_ZN9rocsparseL17sddmm_coox_kernelILi512ELi2ELb0E21rocsparse_complex_numIfEiiS2_S2_S2_EEv20rocsparse_operation_S3_16rocsparse_order_S4_T4_S5_S5_T3_NS_24const_host_device_scalarIT2_EEPKT5_lPKT6_lS9_PT7_PKS6_SJ_21rocsparse_index_base_b
; %bb.0:
	s_clause 0x2
	s_load_dwordx2 s[12:13], s[4:5], 0x68
	s_load_dwordx2 s[0:1], s[4:5], 0x20
	s_load_dwordx4 s[8:11], s[4:5], 0x40
	s_add_u32 s2, s4, 32
	s_addc_u32 s3, s5, 0
	s_add_u32 s7, s4, 0x48
	s_addc_u32 s14, s5, 0
	s_waitcnt lgkmcnt(0)
	s_bitcmp1_b32 s13, 0
	s_cselect_b32 s0, s2, s0
	s_cselect_b32 s1, s3, s1
	v_mov_b32_e32 v1, s0
	v_mov_b32_e32 v2, s1
	s_cselect_b32 s0, s7, s10
	s_cselect_b32 s1, s14, s11
	v_mov_b32_e32 v3, s0
	v_mov_b32_e32 v4, s1
	flat_load_dwordx2 v[1:2], v[1:2]
	s_mov_b32 s0, -1
	s_mov_b32 s1, exec_lo
	flat_load_dwordx2 v[3:4], v[3:4]
	s_waitcnt vmcnt(1) lgkmcnt(1)
	v_or_b32_e32 v5, v1, v2
	v_and_b32_e32 v5, 0x7fffffff, v5
	v_cmpx_eq_u32_e32 0, v5
	s_cbranch_execz .LBB18_2
; %bb.1:
	s_waitcnt vmcnt(0) lgkmcnt(0)
	v_cmp_neq_f32_e32 vcc_lo, 1.0, v3
	v_cmp_neq_f32_e64 s0, 0, v4
	s_or_b32 s0, vcc_lo, s0
	s_orn2_b32 s0, s0, exec_lo
.LBB18_2:
	s_or_b32 exec_lo, exec_lo, s1
	s_and_saveexec_b32 s1, s0
	s_cbranch_execz .LBB18_28
; %bb.3:
	s_load_dwordx2 s[10:11], s[4:5], 0x18
	v_lshrrev_b32_e32 v13, 1, v0
	v_lshl_or_b32 v5, s6, 8, v13
	s_waitcnt lgkmcnt(0)
	v_cmp_gt_i32_e32 vcc_lo, s11, v5
	s_and_b32 exec_lo, exec_lo, vcc_lo
	s_cbranch_execz .LBB18_28
; %bb.4:
	s_load_dwordx4 s[0:3], s[4:5], 0x58
	v_ashrrev_i32_e32 v6, 31, v5
	v_lshlrev_b64 v[7:8], 2, v[5:6]
	s_waitcnt lgkmcnt(0)
	v_add_co_u32 v9, vcc_lo, s0, v7
	v_add_co_ci_u32_e64 v10, null, s1, v8, vcc_lo
	v_add_co_u32 v7, vcc_lo, s2, v7
	v_add_co_ci_u32_e64 v8, null, s3, v8, vcc_lo
	global_load_dword v9, v[9:10], off
	global_load_dword v11, v[7:8], off
	s_clause 0x1
	s_load_dwordx4 s[0:3], s[4:5], 0x0
	s_load_dwordx2 s[6:7], s[4:5], 0x30
	s_waitcnt lgkmcnt(0)
	s_cmp_eq_u32 s2, 1
	s_cselect_b32 s11, -1, 0
	s_cmpk_eq_i32 s0, 0x6f
	s_cselect_b32 s13, -1, 0
	s_cmpk_lg_i32 s0, 0x6f
	s_cselect_b32 s0, -1, 0
	s_cmp_lg_u32 s2, 1
	s_waitcnt vmcnt(1)
	v_subrev_nc_u32_e32 v9, s12, v9
	v_ashrrev_i32_e32 v10, 31, v9
	s_cbranch_scc0 .LBB18_8
; %bb.5:
	v_mov_b32_e32 v7, v9
	v_mov_b32_e32 v8, v10
	s_andn2_b32 vcc_lo, exec_lo, s13
	s_cbranch_vccnz .LBB18_7
; %bb.6:
	v_mul_lo_u32 v12, s7, v9
	v_mul_lo_u32 v14, s6, v10
	v_mad_u64_u32 v[7:8], null, s6, v9, 0
	v_add3_u32 v8, v8, v14, v12
.LBB18_7:
	s_cbranch_execz .LBB18_9
	s_branch .LBB18_12
.LBB18_8:
                                        ; implicit-def: $vgpr7_vgpr8
.LBB18_9:
	s_andn2_b32 vcc_lo, exec_lo, s0
	s_cbranch_vccnz .LBB18_11
; %bb.10:
	v_mul_lo_u32 v7, s7, v9
	v_mul_lo_u32 v8, s6, v10
	v_mad_u64_u32 v[9:10], null, s6, v9, 0
	v_add3_u32 v10, v10, v8, v7
.LBB18_11:
	v_mov_b32_e32 v7, v9
	v_mov_b32_e32 v8, v10
.LBB18_12:
	s_waitcnt vmcnt(0)
	v_subrev_nc_u32_e32 v9, s12, v11
	s_cmp_eq_u32 s3, 1
	s_cselect_b32 s7, -1, 0
	s_cmpk_eq_i32 s1, 0x6f
	v_ashrrev_i32_e32 v10, 31, v9
	s_cselect_b32 s12, -1, 0
	s_cmpk_lg_i32 s1, 0x6f
	s_cselect_b32 s0, -1, 0
	s_cmp_lg_u32 s3, 1
	s_cbranch_scc0 .LBB18_16
; %bb.13:
	v_mov_b32_e32 v12, v10
	v_mov_b32_e32 v11, v9
	s_andn2_b32 vcc_lo, exec_lo, s0
	s_cbranch_vccnz .LBB18_15
; %bb.14:
	v_mul_lo_u32 v14, s9, v9
	v_mul_lo_u32 v15, s8, v10
	v_mad_u64_u32 v[11:12], null, s8, v9, 0
	v_add3_u32 v12, v12, v15, v14
.LBB18_15:
	s_cbranch_execz .LBB18_17
	s_branch .LBB18_20
.LBB18_16:
                                        ; implicit-def: $vgpr11_vgpr12
.LBB18_17:
	s_andn2_b32 vcc_lo, exec_lo, s12
	s_cbranch_vccnz .LBB18_19
; %bb.18:
	v_mul_lo_u32 v11, s9, v9
	v_mul_lo_u32 v12, s8, v10
	v_mad_u64_u32 v[9:10], null, s8, v9, 0
	v_add3_u32 v10, v10, v12, v11
.LBB18_19:
	v_mov_b32_e32 v12, v10
	v_mov_b32_e32 v11, v9
.LBB18_20:
	s_load_dwordx2 s[0:1], s[4:5], 0x50
	v_and_b32_e32 v0, 1, v0
	v_mov_b32_e32 v10, 0
	v_mov_b32_e32 v9, 0
	s_mov_b32 s2, exec_lo
	v_cmpx_gt_i32_e64 s10, v0
	s_cbranch_execz .LBB18_24
; %bb.21:
	s_clause 0x1
	s_load_dwordx2 s[14:15], s[4:5], 0x38
	s_load_dwordx2 s[4:5], s[4:5], 0x28
	s_xor_b32 s3, s13, s11
	v_lshlrev_b64 v[14:15], 3, v[11:12]
	s_and_b32 s3, s3, exec_lo
	v_lshlrev_b64 v[8:9], 3, v[7:8]
	s_cselect_b32 s6, 1, s6
	s_xor_b32 s3, s12, s7
	v_mov_b32_e32 v10, 0
	s_and_b32 s3, s3, exec_lo
	s_cselect_b32 s3, s8, 1
	v_mul_lo_u32 v7, s6, v0
	v_mul_lo_u32 v11, s3, v0
	v_mov_b32_e32 v18, v0
	s_lshl_b32 s3, s3, 1
	s_waitcnt lgkmcnt(0)
	v_add_co_u32 v14, vcc_lo, s14, v14
	v_add_co_ci_u32_e64 v15, null, s15, v15, vcc_lo
	v_add_co_u32 v16, vcc_lo, s4, v8
	v_add_co_ci_u32_e64 v17, null, s5, v9, vcc_lo
	v_mov_b32_e32 v9, v10
	s_lshl_b32 s5, s6, 1
	s_mov_b32 s4, 0
	.p2align	6
.LBB18_22:                              ; =>This Inner Loop Header: Depth=1
	v_ashrrev_i32_e32 v8, 31, v7
	v_ashrrev_i32_e32 v12, 31, v11
	v_add_nc_u32_e32 v18, 2, v18
	v_lshlrev_b64 v[19:20], 3, v[7:8]
	v_lshlrev_b64 v[21:22], 3, v[11:12]
	v_add_nc_u32_e32 v11, s3, v11
	v_add_nc_u32_e32 v7, s5, v7
	v_add_co_u32 v19, vcc_lo, v16, v19
	v_add_co_ci_u32_e64 v20, null, v17, v20, vcc_lo
	v_add_co_u32 v21, vcc_lo, v14, v21
	v_add_co_ci_u32_e64 v22, null, v15, v22, vcc_lo
	global_load_dwordx2 v[19:20], v[19:20], off
	global_load_dwordx2 v[21:22], v[21:22], off
	v_cmp_le_i32_e32 vcc_lo, s10, v18
	s_or_b32 s4, vcc_lo, s4
	s_waitcnt vmcnt(0)
	v_mul_f32_e64 v8, v22, -v20
	v_mul_f32_e32 v12, v22, v19
	v_fmac_f32_e32 v8, v19, v21
	v_fmac_f32_e32 v12, v20, v21
	v_add_f32_e32 v9, v9, v8
	v_add_f32_e32 v10, v10, v12
	s_andn2_b32 exec_lo, exec_lo, s4
	s_cbranch_execnz .LBB18_22
; %bb.23:
	s_or_b32 exec_lo, exec_lo, s4
.LBB18_24:
	s_or_b32 exec_lo, exec_lo, s2
	v_lshlrev_b32_e32 v7, 4, v13
	v_cmp_eq_u32_e32 vcc_lo, 0, v0
	v_lshl_or_b32 v8, v0, 3, v7
	ds_write_b64 v8, v[9:10]
	s_waitcnt lgkmcnt(0)
	s_barrier
	buffer_gl0_inv
	s_and_saveexec_b32 s2, vcc_lo
	s_cbranch_execz .LBB18_26
; %bb.25:
	ds_read_b64 v[9:10], v7 offset:8
	ds_read_b64 v[11:12], v8
	s_waitcnt lgkmcnt(0)
	v_add_f32_e32 v9, v9, v11
	v_add_f32_e32 v10, v10, v12
	ds_write_b64 v8, v[9:10]
.LBB18_26:
	s_or_b32 exec_lo, exec_lo, s2
	s_waitcnt lgkmcnt(0)
	s_barrier
	buffer_gl0_inv
	s_and_b32 exec_lo, exec_lo, vcc_lo
	s_cbranch_execz .LBB18_28
; %bb.27:
	v_lshlrev_b64 v[5:6], 3, v[5:6]
	ds_read_b64 v[10:11], v7
	v_add_co_u32 v5, vcc_lo, s0, v5
	v_add_co_ci_u32_e64 v6, null, s1, v6, vcc_lo
	global_load_dwordx2 v[8:9], v[5:6], off
	s_waitcnt lgkmcnt(0)
	v_mul_f32_e64 v0, v11, -v2
	v_mul_f32_e32 v7, v11, v1
	v_fmac_f32_e32 v0, v1, v10
	v_fmac_f32_e32 v7, v2, v10
	s_waitcnt vmcnt(0)
	v_mul_f32_e64 v11, v4, -v9
	v_mul_f32_e32 v4, v4, v8
	v_fmac_f32_e32 v11, v8, v3
	v_fmac_f32_e32 v4, v9, v3
	v_add_f32_e32 v0, v0, v11
	v_add_f32_e32 v1, v7, v4
	global_store_dwordx2 v[5:6], v[0:1], off
.LBB18_28:
	s_endpgm
	.section	.rodata,"a",@progbits
	.p2align	6, 0x0
	.amdhsa_kernel _ZN9rocsparseL17sddmm_coox_kernelILi512ELi2ELb0E21rocsparse_complex_numIfEiiS2_S2_S2_EEv20rocsparse_operation_S3_16rocsparse_order_S4_T4_S5_S5_T3_NS_24const_host_device_scalarIT2_EEPKT5_lPKT6_lS9_PT7_PKS6_SJ_21rocsparse_index_base_b
		.amdhsa_group_segment_fixed_size 4096
		.amdhsa_private_segment_fixed_size 0
		.amdhsa_kernarg_size 112
		.amdhsa_user_sgpr_count 6
		.amdhsa_user_sgpr_private_segment_buffer 1
		.amdhsa_user_sgpr_dispatch_ptr 0
		.amdhsa_user_sgpr_queue_ptr 0
		.amdhsa_user_sgpr_kernarg_segment_ptr 1
		.amdhsa_user_sgpr_dispatch_id 0
		.amdhsa_user_sgpr_flat_scratch_init 0
		.amdhsa_user_sgpr_private_segment_size 0
		.amdhsa_wavefront_size32 1
		.amdhsa_uses_dynamic_stack 0
		.amdhsa_system_sgpr_private_segment_wavefront_offset 0
		.amdhsa_system_sgpr_workgroup_id_x 1
		.amdhsa_system_sgpr_workgroup_id_y 0
		.amdhsa_system_sgpr_workgroup_id_z 0
		.amdhsa_system_sgpr_workgroup_info 0
		.amdhsa_system_vgpr_workitem_id 0
		.amdhsa_next_free_vgpr 23
		.amdhsa_next_free_sgpr 16
		.amdhsa_reserve_vcc 1
		.amdhsa_reserve_flat_scratch 0
		.amdhsa_float_round_mode_32 0
		.amdhsa_float_round_mode_16_64 0
		.amdhsa_float_denorm_mode_32 3
		.amdhsa_float_denorm_mode_16_64 3
		.amdhsa_dx10_clamp 1
		.amdhsa_ieee_mode 1
		.amdhsa_fp16_overflow 0
		.amdhsa_workgroup_processor_mode 1
		.amdhsa_memory_ordered 1
		.amdhsa_forward_progress 1
		.amdhsa_shared_vgpr_count 0
		.amdhsa_exception_fp_ieee_invalid_op 0
		.amdhsa_exception_fp_denorm_src 0
		.amdhsa_exception_fp_ieee_div_zero 0
		.amdhsa_exception_fp_ieee_overflow 0
		.amdhsa_exception_fp_ieee_underflow 0
		.amdhsa_exception_fp_ieee_inexact 0
		.amdhsa_exception_int_div_zero 0
	.end_amdhsa_kernel
	.section	.text._ZN9rocsparseL17sddmm_coox_kernelILi512ELi2ELb0E21rocsparse_complex_numIfEiiS2_S2_S2_EEv20rocsparse_operation_S3_16rocsparse_order_S4_T4_S5_S5_T3_NS_24const_host_device_scalarIT2_EEPKT5_lPKT6_lS9_PT7_PKS6_SJ_21rocsparse_index_base_b,"axG",@progbits,_ZN9rocsparseL17sddmm_coox_kernelILi512ELi2ELb0E21rocsparse_complex_numIfEiiS2_S2_S2_EEv20rocsparse_operation_S3_16rocsparse_order_S4_T4_S5_S5_T3_NS_24const_host_device_scalarIT2_EEPKT5_lPKT6_lS9_PT7_PKS6_SJ_21rocsparse_index_base_b,comdat
.Lfunc_end18:
	.size	_ZN9rocsparseL17sddmm_coox_kernelILi512ELi2ELb0E21rocsparse_complex_numIfEiiS2_S2_S2_EEv20rocsparse_operation_S3_16rocsparse_order_S4_T4_S5_S5_T3_NS_24const_host_device_scalarIT2_EEPKT5_lPKT6_lS9_PT7_PKS6_SJ_21rocsparse_index_base_b, .Lfunc_end18-_ZN9rocsparseL17sddmm_coox_kernelILi512ELi2ELb0E21rocsparse_complex_numIfEiiS2_S2_S2_EEv20rocsparse_operation_S3_16rocsparse_order_S4_T4_S5_S5_T3_NS_24const_host_device_scalarIT2_EEPKT5_lPKT6_lS9_PT7_PKS6_SJ_21rocsparse_index_base_b
                                        ; -- End function
	.set _ZN9rocsparseL17sddmm_coox_kernelILi512ELi2ELb0E21rocsparse_complex_numIfEiiS2_S2_S2_EEv20rocsparse_operation_S3_16rocsparse_order_S4_T4_S5_S5_T3_NS_24const_host_device_scalarIT2_EEPKT5_lPKT6_lS9_PT7_PKS6_SJ_21rocsparse_index_base_b.num_vgpr, 23
	.set _ZN9rocsparseL17sddmm_coox_kernelILi512ELi2ELb0E21rocsparse_complex_numIfEiiS2_S2_S2_EEv20rocsparse_operation_S3_16rocsparse_order_S4_T4_S5_S5_T3_NS_24const_host_device_scalarIT2_EEPKT5_lPKT6_lS9_PT7_PKS6_SJ_21rocsparse_index_base_b.num_agpr, 0
	.set _ZN9rocsparseL17sddmm_coox_kernelILi512ELi2ELb0E21rocsparse_complex_numIfEiiS2_S2_S2_EEv20rocsparse_operation_S3_16rocsparse_order_S4_T4_S5_S5_T3_NS_24const_host_device_scalarIT2_EEPKT5_lPKT6_lS9_PT7_PKS6_SJ_21rocsparse_index_base_b.numbered_sgpr, 16
	.set _ZN9rocsparseL17sddmm_coox_kernelILi512ELi2ELb0E21rocsparse_complex_numIfEiiS2_S2_S2_EEv20rocsparse_operation_S3_16rocsparse_order_S4_T4_S5_S5_T3_NS_24const_host_device_scalarIT2_EEPKT5_lPKT6_lS9_PT7_PKS6_SJ_21rocsparse_index_base_b.num_named_barrier, 0
	.set _ZN9rocsparseL17sddmm_coox_kernelILi512ELi2ELb0E21rocsparse_complex_numIfEiiS2_S2_S2_EEv20rocsparse_operation_S3_16rocsparse_order_S4_T4_S5_S5_T3_NS_24const_host_device_scalarIT2_EEPKT5_lPKT6_lS9_PT7_PKS6_SJ_21rocsparse_index_base_b.private_seg_size, 0
	.set _ZN9rocsparseL17sddmm_coox_kernelILi512ELi2ELb0E21rocsparse_complex_numIfEiiS2_S2_S2_EEv20rocsparse_operation_S3_16rocsparse_order_S4_T4_S5_S5_T3_NS_24const_host_device_scalarIT2_EEPKT5_lPKT6_lS9_PT7_PKS6_SJ_21rocsparse_index_base_b.uses_vcc, 1
	.set _ZN9rocsparseL17sddmm_coox_kernelILi512ELi2ELb0E21rocsparse_complex_numIfEiiS2_S2_S2_EEv20rocsparse_operation_S3_16rocsparse_order_S4_T4_S5_S5_T3_NS_24const_host_device_scalarIT2_EEPKT5_lPKT6_lS9_PT7_PKS6_SJ_21rocsparse_index_base_b.uses_flat_scratch, 0
	.set _ZN9rocsparseL17sddmm_coox_kernelILi512ELi2ELb0E21rocsparse_complex_numIfEiiS2_S2_S2_EEv20rocsparse_operation_S3_16rocsparse_order_S4_T4_S5_S5_T3_NS_24const_host_device_scalarIT2_EEPKT5_lPKT6_lS9_PT7_PKS6_SJ_21rocsparse_index_base_b.has_dyn_sized_stack, 0
	.set _ZN9rocsparseL17sddmm_coox_kernelILi512ELi2ELb0E21rocsparse_complex_numIfEiiS2_S2_S2_EEv20rocsparse_operation_S3_16rocsparse_order_S4_T4_S5_S5_T3_NS_24const_host_device_scalarIT2_EEPKT5_lPKT6_lS9_PT7_PKS6_SJ_21rocsparse_index_base_b.has_recursion, 0
	.set _ZN9rocsparseL17sddmm_coox_kernelILi512ELi2ELb0E21rocsparse_complex_numIfEiiS2_S2_S2_EEv20rocsparse_operation_S3_16rocsparse_order_S4_T4_S5_S5_T3_NS_24const_host_device_scalarIT2_EEPKT5_lPKT6_lS9_PT7_PKS6_SJ_21rocsparse_index_base_b.has_indirect_call, 0
	.section	.AMDGPU.csdata,"",@progbits
; Kernel info:
; codeLenInByte = 1192
; TotalNumSgprs: 18
; NumVgprs: 23
; ScratchSize: 0
; MemoryBound: 0
; FloatMode: 240
; IeeeMode: 1
; LDSByteSize: 4096 bytes/workgroup (compile time only)
; SGPRBlocks: 0
; VGPRBlocks: 2
; NumSGPRsForWavesPerEU: 18
; NumVGPRsForWavesPerEU: 23
; Occupancy: 16
; WaveLimiterHint : 0
; COMPUTE_PGM_RSRC2:SCRATCH_EN: 0
; COMPUTE_PGM_RSRC2:USER_SGPR: 6
; COMPUTE_PGM_RSRC2:TRAP_HANDLER: 0
; COMPUTE_PGM_RSRC2:TGID_X_EN: 1
; COMPUTE_PGM_RSRC2:TGID_Y_EN: 0
; COMPUTE_PGM_RSRC2:TGID_Z_EN: 0
; COMPUTE_PGM_RSRC2:TIDIG_COMP_CNT: 0
	.section	.text._ZN9rocsparseL17sddmm_coox_kernelILi512ELi1ELb0E21rocsparse_complex_numIfEiiS2_S2_S2_EEv20rocsparse_operation_S3_16rocsparse_order_S4_T4_S5_S5_T3_NS_24const_host_device_scalarIT2_EEPKT5_lPKT6_lS9_PT7_PKS6_SJ_21rocsparse_index_base_b,"axG",@progbits,_ZN9rocsparseL17sddmm_coox_kernelILi512ELi1ELb0E21rocsparse_complex_numIfEiiS2_S2_S2_EEv20rocsparse_operation_S3_16rocsparse_order_S4_T4_S5_S5_T3_NS_24const_host_device_scalarIT2_EEPKT5_lPKT6_lS9_PT7_PKS6_SJ_21rocsparse_index_base_b,comdat
	.globl	_ZN9rocsparseL17sddmm_coox_kernelILi512ELi1ELb0E21rocsparse_complex_numIfEiiS2_S2_S2_EEv20rocsparse_operation_S3_16rocsparse_order_S4_T4_S5_S5_T3_NS_24const_host_device_scalarIT2_EEPKT5_lPKT6_lS9_PT7_PKS6_SJ_21rocsparse_index_base_b ; -- Begin function _ZN9rocsparseL17sddmm_coox_kernelILi512ELi1ELb0E21rocsparse_complex_numIfEiiS2_S2_S2_EEv20rocsparse_operation_S3_16rocsparse_order_S4_T4_S5_S5_T3_NS_24const_host_device_scalarIT2_EEPKT5_lPKT6_lS9_PT7_PKS6_SJ_21rocsparse_index_base_b
	.p2align	8
	.type	_ZN9rocsparseL17sddmm_coox_kernelILi512ELi1ELb0E21rocsparse_complex_numIfEiiS2_S2_S2_EEv20rocsparse_operation_S3_16rocsparse_order_S4_T4_S5_S5_T3_NS_24const_host_device_scalarIT2_EEPKT5_lPKT6_lS9_PT7_PKS6_SJ_21rocsparse_index_base_b,@function
_ZN9rocsparseL17sddmm_coox_kernelILi512ELi1ELb0E21rocsparse_complex_numIfEiiS2_S2_S2_EEv20rocsparse_operation_S3_16rocsparse_order_S4_T4_S5_S5_T3_NS_24const_host_device_scalarIT2_EEPKT5_lPKT6_lS9_PT7_PKS6_SJ_21rocsparse_index_base_b: ; @_ZN9rocsparseL17sddmm_coox_kernelILi512ELi1ELb0E21rocsparse_complex_numIfEiiS2_S2_S2_EEv20rocsparse_operation_S3_16rocsparse_order_S4_T4_S5_S5_T3_NS_24const_host_device_scalarIT2_EEPKT5_lPKT6_lS9_PT7_PKS6_SJ_21rocsparse_index_base_b
; %bb.0:
	s_clause 0x2
	s_load_dwordx2 s[12:13], s[4:5], 0x68
	s_load_dwordx2 s[0:1], s[4:5], 0x20
	s_load_dwordx4 s[8:11], s[4:5], 0x40
	s_add_u32 s2, s4, 32
	s_addc_u32 s3, s5, 0
	s_add_u32 s7, s4, 0x48
	s_addc_u32 s14, s5, 0
	s_waitcnt lgkmcnt(0)
	s_bitcmp1_b32 s13, 0
	s_cselect_b32 s0, s2, s0
	s_cselect_b32 s1, s3, s1
	v_mov_b32_e32 v1, s0
	v_mov_b32_e32 v2, s1
	s_cselect_b32 s0, s7, s10
	s_cselect_b32 s1, s14, s11
	v_mov_b32_e32 v3, s0
	v_mov_b32_e32 v4, s1
	flat_load_dwordx2 v[1:2], v[1:2]
	s_mov_b32 s0, -1
	s_mov_b32 s1, exec_lo
	flat_load_dwordx2 v[3:4], v[3:4]
	s_waitcnt vmcnt(1) lgkmcnt(1)
	v_or_b32_e32 v5, v1, v2
	v_and_b32_e32 v5, 0x7fffffff, v5
	v_cmpx_eq_u32_e32 0, v5
	s_cbranch_execz .LBB19_2
; %bb.1:
	s_waitcnt vmcnt(0) lgkmcnt(0)
	v_cmp_neq_f32_e32 vcc_lo, 1.0, v3
	v_cmp_neq_f32_e64 s0, 0, v4
	s_or_b32 s0, vcc_lo, s0
	s_orn2_b32 s0, s0, exec_lo
.LBB19_2:
	s_or_b32 exec_lo, exec_lo, s1
	s_and_saveexec_b32 s1, s0
	s_cbranch_execz .LBB19_25
; %bb.3:
	s_load_dwordx2 s[10:11], s[4:5], 0x18
	v_lshl_or_b32 v5, s6, 9, v0
	s_waitcnt lgkmcnt(0)
	v_cmp_gt_i32_e32 vcc_lo, s11, v5
	s_and_b32 exec_lo, exec_lo, vcc_lo
	s_cbranch_execz .LBB19_25
; %bb.4:
	s_load_dwordx4 s[0:3], s[4:5], 0x58
	v_ashrrev_i32_e32 v6, 31, v5
	v_lshlrev_b64 v[7:8], 2, v[5:6]
	s_waitcnt lgkmcnt(0)
	v_add_co_u32 v9, vcc_lo, s0, v7
	v_add_co_ci_u32_e64 v10, null, s1, v8, vcc_lo
	v_add_co_u32 v7, vcc_lo, s2, v7
	v_add_co_ci_u32_e64 v8, null, s3, v8, vcc_lo
	global_load_dword v9, v[9:10], off
	global_load_dword v11, v[7:8], off
	s_clause 0x1
	s_load_dwordx4 s[0:3], s[4:5], 0x0
	s_load_dwordx2 s[6:7], s[4:5], 0x30
	s_waitcnt lgkmcnt(0)
	s_cmp_eq_u32 s2, 1
	s_cselect_b32 s11, -1, 0
	s_cmpk_eq_i32 s0, 0x6f
	s_cselect_b32 s13, -1, 0
	s_cmpk_lg_i32 s0, 0x6f
	s_cselect_b32 s0, -1, 0
	s_cmp_lg_u32 s2, 1
	s_waitcnt vmcnt(1)
	v_subrev_nc_u32_e32 v9, s12, v9
	v_ashrrev_i32_e32 v10, 31, v9
	s_cbranch_scc0 .LBB19_8
; %bb.5:
	v_mov_b32_e32 v7, v9
	v_mov_b32_e32 v8, v10
	s_andn2_b32 vcc_lo, exec_lo, s13
	s_cbranch_vccnz .LBB19_7
; %bb.6:
	v_mul_lo_u32 v12, s7, v9
	v_mul_lo_u32 v13, s6, v10
	v_mad_u64_u32 v[7:8], null, s6, v9, 0
	v_add3_u32 v8, v8, v13, v12
.LBB19_7:
	s_cbranch_execz .LBB19_9
	s_branch .LBB19_12
.LBB19_8:
                                        ; implicit-def: $vgpr7_vgpr8
.LBB19_9:
	s_andn2_b32 vcc_lo, exec_lo, s0
	s_cbranch_vccnz .LBB19_11
; %bb.10:
	v_mul_lo_u32 v7, s7, v9
	v_mul_lo_u32 v8, s6, v10
	v_mad_u64_u32 v[9:10], null, s6, v9, 0
	v_add3_u32 v10, v10, v8, v7
.LBB19_11:
	v_mov_b32_e32 v7, v9
	v_mov_b32_e32 v8, v10
.LBB19_12:
	s_waitcnt vmcnt(0)
	v_subrev_nc_u32_e32 v9, s12, v11
	s_cmp_eq_u32 s3, 1
	s_cselect_b32 s2, -1, 0
	s_cmpk_eq_i32 s1, 0x6f
	v_ashrrev_i32_e32 v10, 31, v9
	s_cselect_b32 s7, -1, 0
	s_cmpk_lg_i32 s1, 0x6f
	s_cselect_b32 s0, -1, 0
	s_cmp_lg_u32 s3, 1
	s_cbranch_scc0 .LBB19_19
; %bb.13:
	v_mov_b32_e32 v12, v10
	v_mov_b32_e32 v11, v9
	s_andn2_b32 vcc_lo, exec_lo, s0
	s_cbranch_vccnz .LBB19_15
; %bb.14:
	v_mul_lo_u32 v13, s9, v9
	v_mul_lo_u32 v14, s8, v10
	v_mad_u64_u32 v[11:12], null, s8, v9, 0
	v_add3_u32 v12, v12, v14, v13
.LBB19_15:
	s_cbranch_execz .LBB19_20
; %bb.16:
	s_load_dwordx2 s[0:1], s[4:5], 0x50
	s_cmp_lt_i32 s10, 1
	s_cbranch_scc1 .LBB19_23
.LBB19_17:
	s_clause 0x1
	s_load_dwordx2 s[14:15], s[4:5], 0x38
	s_load_dwordx2 s[4:5], s[4:5], 0x28
	v_lshlrev_b64 v[11:12], 3, v[11:12]
	v_lshlrev_b64 v[9:10], 3, v[7:8]
	s_xor_b32 s3, s13, s11
	v_mov_b32_e32 v8, 0
	s_and_b32 s3, s3, exec_lo
	s_cselect_b32 s6, 1, s6
	s_xor_b32 s2, s7, s2
	s_and_b32 s2, s2, exec_lo
	s_cselect_b32 s2, s8, 1
	s_ashr_i32 s7, s6, 31
	s_ashr_i32 s3, s2, 31
	s_lshl_b64 s[2:3], s[2:3], 3
	s_waitcnt lgkmcnt(0)
	v_add_co_u32 v7, vcc_lo, s14, v11
	v_add_co_ci_u32_e64 v12, null, s15, v12, vcc_lo
	v_add_co_u32 v9, vcc_lo, s4, v9
	v_add_co_ci_u32_e64 v10, null, s5, v10, vcc_lo
	;; [unrolled: 2-line block ×3, first 2 shown]
	v_mov_b32_e32 v7, 0
	s_lshl_b64 s[4:5], s[6:7], 3
	.p2align	6
.LBB19_18:                              ; =>This Inner Loop Header: Depth=1
	global_load_dwordx2 v[13:14], v[9:10], off
	global_load_dwordx2 v[15:16], v[11:12], off offset:-4
	v_add_co_u32 v11, vcc_lo, v11, s2
	v_add_co_ci_u32_e64 v12, null, s3, v12, vcc_lo
	v_add_co_u32 v9, vcc_lo, v9, s4
	v_add_co_ci_u32_e64 v10, null, s5, v10, vcc_lo
	s_add_i32 s10, s10, -1
	s_cmp_eq_u32 s10, 0
	s_waitcnt vmcnt(0)
	v_mul_f32_e64 v17, v16, -v14
	v_mul_f32_e32 v16, v16, v13
	v_fmac_f32_e32 v17, v13, v15
	v_fmac_f32_e32 v16, v14, v15
	v_add_f32_e32 v7, v7, v17
	v_add_f32_e32 v8, v8, v16
	s_cbranch_scc0 .LBB19_18
	s_branch .LBB19_24
.LBB19_19:
                                        ; implicit-def: $vgpr11_vgpr12
.LBB19_20:
	s_andn2_b32 vcc_lo, exec_lo, s7
	s_cbranch_vccnz .LBB19_22
; %bb.21:
	v_mul_lo_u32 v11, s9, v9
	v_mul_lo_u32 v12, s8, v10
	v_mad_u64_u32 v[9:10], null, s8, v9, 0
	v_add3_u32 v10, v10, v12, v11
.LBB19_22:
	v_mov_b32_e32 v12, v10
	v_mov_b32_e32 v11, v9
	s_load_dwordx2 s[0:1], s[4:5], 0x50
	s_cmp_lt_i32 s10, 1
	s_cbranch_scc0 .LBB19_17
.LBB19_23:
	v_mov_b32_e32 v8, 0
	v_mov_b32_e32 v7, 0
.LBB19_24:
	v_lshlrev_b64 v[5:6], 3, v[5:6]
	v_lshlrev_b32_e32 v0, 3, v0
	ds_write_b64 v0, v[7:8]
	s_waitcnt lgkmcnt(0)
	v_add_co_u32 v5, vcc_lo, s0, v5
	v_add_co_ci_u32_e64 v6, null, s1, v6, vcc_lo
	s_barrier
	buffer_gl0_inv
	global_load_dwordx2 v[7:8], v[5:6], off
	ds_read_b64 v[9:10], v0
	s_waitcnt lgkmcnt(0)
	v_mul_f32_e64 v0, v10, -v2
	v_mul_f32_e32 v10, v10, v1
	v_fmac_f32_e32 v0, v1, v9
	v_fmac_f32_e32 v10, v2, v9
	s_waitcnt vmcnt(0)
	v_mul_f32_e64 v11, v4, -v8
	v_mul_f32_e32 v4, v4, v7
	v_fmac_f32_e32 v11, v7, v3
	v_fmac_f32_e32 v4, v8, v3
	v_add_f32_e32 v0, v0, v11
	v_add_f32_e32 v1, v10, v4
	global_store_dwordx2 v[5:6], v[0:1], off
.LBB19_25:
	s_endpgm
	.section	.rodata,"a",@progbits
	.p2align	6, 0x0
	.amdhsa_kernel _ZN9rocsparseL17sddmm_coox_kernelILi512ELi1ELb0E21rocsparse_complex_numIfEiiS2_S2_S2_EEv20rocsparse_operation_S3_16rocsparse_order_S4_T4_S5_S5_T3_NS_24const_host_device_scalarIT2_EEPKT5_lPKT6_lS9_PT7_PKS6_SJ_21rocsparse_index_base_b
		.amdhsa_group_segment_fixed_size 4096
		.amdhsa_private_segment_fixed_size 0
		.amdhsa_kernarg_size 112
		.amdhsa_user_sgpr_count 6
		.amdhsa_user_sgpr_private_segment_buffer 1
		.amdhsa_user_sgpr_dispatch_ptr 0
		.amdhsa_user_sgpr_queue_ptr 0
		.amdhsa_user_sgpr_kernarg_segment_ptr 1
		.amdhsa_user_sgpr_dispatch_id 0
		.amdhsa_user_sgpr_flat_scratch_init 0
		.amdhsa_user_sgpr_private_segment_size 0
		.amdhsa_wavefront_size32 1
		.amdhsa_uses_dynamic_stack 0
		.amdhsa_system_sgpr_private_segment_wavefront_offset 0
		.amdhsa_system_sgpr_workgroup_id_x 1
		.amdhsa_system_sgpr_workgroup_id_y 0
		.amdhsa_system_sgpr_workgroup_id_z 0
		.amdhsa_system_sgpr_workgroup_info 0
		.amdhsa_system_vgpr_workitem_id 0
		.amdhsa_next_free_vgpr 18
		.amdhsa_next_free_sgpr 16
		.amdhsa_reserve_vcc 1
		.amdhsa_reserve_flat_scratch 0
		.amdhsa_float_round_mode_32 0
		.amdhsa_float_round_mode_16_64 0
		.amdhsa_float_denorm_mode_32 3
		.amdhsa_float_denorm_mode_16_64 3
		.amdhsa_dx10_clamp 1
		.amdhsa_ieee_mode 1
		.amdhsa_fp16_overflow 0
		.amdhsa_workgroup_processor_mode 1
		.amdhsa_memory_ordered 1
		.amdhsa_forward_progress 1
		.amdhsa_shared_vgpr_count 0
		.amdhsa_exception_fp_ieee_invalid_op 0
		.amdhsa_exception_fp_denorm_src 0
		.amdhsa_exception_fp_ieee_div_zero 0
		.amdhsa_exception_fp_ieee_overflow 0
		.amdhsa_exception_fp_ieee_underflow 0
		.amdhsa_exception_fp_ieee_inexact 0
		.amdhsa_exception_int_div_zero 0
	.end_amdhsa_kernel
	.section	.text._ZN9rocsparseL17sddmm_coox_kernelILi512ELi1ELb0E21rocsparse_complex_numIfEiiS2_S2_S2_EEv20rocsparse_operation_S3_16rocsparse_order_S4_T4_S5_S5_T3_NS_24const_host_device_scalarIT2_EEPKT5_lPKT6_lS9_PT7_PKS6_SJ_21rocsparse_index_base_b,"axG",@progbits,_ZN9rocsparseL17sddmm_coox_kernelILi512ELi1ELb0E21rocsparse_complex_numIfEiiS2_S2_S2_EEv20rocsparse_operation_S3_16rocsparse_order_S4_T4_S5_S5_T3_NS_24const_host_device_scalarIT2_EEPKT5_lPKT6_lS9_PT7_PKS6_SJ_21rocsparse_index_base_b,comdat
.Lfunc_end19:
	.size	_ZN9rocsparseL17sddmm_coox_kernelILi512ELi1ELb0E21rocsparse_complex_numIfEiiS2_S2_S2_EEv20rocsparse_operation_S3_16rocsparse_order_S4_T4_S5_S5_T3_NS_24const_host_device_scalarIT2_EEPKT5_lPKT6_lS9_PT7_PKS6_SJ_21rocsparse_index_base_b, .Lfunc_end19-_ZN9rocsparseL17sddmm_coox_kernelILi512ELi1ELb0E21rocsparse_complex_numIfEiiS2_S2_S2_EEv20rocsparse_operation_S3_16rocsparse_order_S4_T4_S5_S5_T3_NS_24const_host_device_scalarIT2_EEPKT5_lPKT6_lS9_PT7_PKS6_SJ_21rocsparse_index_base_b
                                        ; -- End function
	.set _ZN9rocsparseL17sddmm_coox_kernelILi512ELi1ELb0E21rocsparse_complex_numIfEiiS2_S2_S2_EEv20rocsparse_operation_S3_16rocsparse_order_S4_T4_S5_S5_T3_NS_24const_host_device_scalarIT2_EEPKT5_lPKT6_lS9_PT7_PKS6_SJ_21rocsparse_index_base_b.num_vgpr, 18
	.set _ZN9rocsparseL17sddmm_coox_kernelILi512ELi1ELb0E21rocsparse_complex_numIfEiiS2_S2_S2_EEv20rocsparse_operation_S3_16rocsparse_order_S4_T4_S5_S5_T3_NS_24const_host_device_scalarIT2_EEPKT5_lPKT6_lS9_PT7_PKS6_SJ_21rocsparse_index_base_b.num_agpr, 0
	.set _ZN9rocsparseL17sddmm_coox_kernelILi512ELi1ELb0E21rocsparse_complex_numIfEiiS2_S2_S2_EEv20rocsparse_operation_S3_16rocsparse_order_S4_T4_S5_S5_T3_NS_24const_host_device_scalarIT2_EEPKT5_lPKT6_lS9_PT7_PKS6_SJ_21rocsparse_index_base_b.numbered_sgpr, 16
	.set _ZN9rocsparseL17sddmm_coox_kernelILi512ELi1ELb0E21rocsparse_complex_numIfEiiS2_S2_S2_EEv20rocsparse_operation_S3_16rocsparse_order_S4_T4_S5_S5_T3_NS_24const_host_device_scalarIT2_EEPKT5_lPKT6_lS9_PT7_PKS6_SJ_21rocsparse_index_base_b.num_named_barrier, 0
	.set _ZN9rocsparseL17sddmm_coox_kernelILi512ELi1ELb0E21rocsparse_complex_numIfEiiS2_S2_S2_EEv20rocsparse_operation_S3_16rocsparse_order_S4_T4_S5_S5_T3_NS_24const_host_device_scalarIT2_EEPKT5_lPKT6_lS9_PT7_PKS6_SJ_21rocsparse_index_base_b.private_seg_size, 0
	.set _ZN9rocsparseL17sddmm_coox_kernelILi512ELi1ELb0E21rocsparse_complex_numIfEiiS2_S2_S2_EEv20rocsparse_operation_S3_16rocsparse_order_S4_T4_S5_S5_T3_NS_24const_host_device_scalarIT2_EEPKT5_lPKT6_lS9_PT7_PKS6_SJ_21rocsparse_index_base_b.uses_vcc, 1
	.set _ZN9rocsparseL17sddmm_coox_kernelILi512ELi1ELb0E21rocsparse_complex_numIfEiiS2_S2_S2_EEv20rocsparse_operation_S3_16rocsparse_order_S4_T4_S5_S5_T3_NS_24const_host_device_scalarIT2_EEPKT5_lPKT6_lS9_PT7_PKS6_SJ_21rocsparse_index_base_b.uses_flat_scratch, 0
	.set _ZN9rocsparseL17sddmm_coox_kernelILi512ELi1ELb0E21rocsparse_complex_numIfEiiS2_S2_S2_EEv20rocsparse_operation_S3_16rocsparse_order_S4_T4_S5_S5_T3_NS_24const_host_device_scalarIT2_EEPKT5_lPKT6_lS9_PT7_PKS6_SJ_21rocsparse_index_base_b.has_dyn_sized_stack, 0
	.set _ZN9rocsparseL17sddmm_coox_kernelILi512ELi1ELb0E21rocsparse_complex_numIfEiiS2_S2_S2_EEv20rocsparse_operation_S3_16rocsparse_order_S4_T4_S5_S5_T3_NS_24const_host_device_scalarIT2_EEPKT5_lPKT6_lS9_PT7_PKS6_SJ_21rocsparse_index_base_b.has_recursion, 0
	.set _ZN9rocsparseL17sddmm_coox_kernelILi512ELi1ELb0E21rocsparse_complex_numIfEiiS2_S2_S2_EEv20rocsparse_operation_S3_16rocsparse_order_S4_T4_S5_S5_T3_NS_24const_host_device_scalarIT2_EEPKT5_lPKT6_lS9_PT7_PKS6_SJ_21rocsparse_index_base_b.has_indirect_call, 0
	.section	.AMDGPU.csdata,"",@progbits
; Kernel info:
; codeLenInByte = 1008
; TotalNumSgprs: 18
; NumVgprs: 18
; ScratchSize: 0
; MemoryBound: 0
; FloatMode: 240
; IeeeMode: 1
; LDSByteSize: 4096 bytes/workgroup (compile time only)
; SGPRBlocks: 0
; VGPRBlocks: 2
; NumSGPRsForWavesPerEU: 18
; NumVGPRsForWavesPerEU: 18
; Occupancy: 16
; WaveLimiterHint : 0
; COMPUTE_PGM_RSRC2:SCRATCH_EN: 0
; COMPUTE_PGM_RSRC2:USER_SGPR: 6
; COMPUTE_PGM_RSRC2:TRAP_HANDLER: 0
; COMPUTE_PGM_RSRC2:TGID_X_EN: 1
; COMPUTE_PGM_RSRC2:TGID_Y_EN: 0
; COMPUTE_PGM_RSRC2:TGID_Z_EN: 0
; COMPUTE_PGM_RSRC2:TIDIG_COMP_CNT: 0
	.section	.text._ZN9rocsparseL24sddmm_coox_sample_kernelILi512ELb0E21rocsparse_complex_numIdEiiS2_EEvT3_S3_T2_PKT4_S3_PS5_PKS4_SA_21rocsparse_index_base_,"axG",@progbits,_ZN9rocsparseL24sddmm_coox_sample_kernelILi512ELb0E21rocsparse_complex_numIdEiiS2_EEvT3_S3_T2_PKT4_S3_PS5_PKS4_SA_21rocsparse_index_base_,comdat
	.globl	_ZN9rocsparseL24sddmm_coox_sample_kernelILi512ELb0E21rocsparse_complex_numIdEiiS2_EEvT3_S3_T2_PKT4_S3_PS5_PKS4_SA_21rocsparse_index_base_ ; -- Begin function _ZN9rocsparseL24sddmm_coox_sample_kernelILi512ELb0E21rocsparse_complex_numIdEiiS2_EEvT3_S3_T2_PKT4_S3_PS5_PKS4_SA_21rocsparse_index_base_
	.p2align	8
	.type	_ZN9rocsparseL24sddmm_coox_sample_kernelILi512ELb0E21rocsparse_complex_numIdEiiS2_EEvT3_S3_T2_PKT4_S3_PS5_PKS4_SA_21rocsparse_index_base_,@function
_ZN9rocsparseL24sddmm_coox_sample_kernelILi512ELb0E21rocsparse_complex_numIdEiiS2_EEvT3_S3_T2_PKT4_S3_PS5_PKS4_SA_21rocsparse_index_base_: ; @_ZN9rocsparseL24sddmm_coox_sample_kernelILi512ELb0E21rocsparse_complex_numIdEiiS2_EEvT3_S3_T2_PKT4_S3_PS5_PKS4_SA_21rocsparse_index_base_
; %bb.0:
	s_load_dword s1, s[4:5], 0x8
	v_lshl_or_b32 v0, s6, 9, v0
	s_mov_b32 s0, exec_lo
	s_waitcnt lgkmcnt(0)
	v_cmpx_gt_u32_e64 s1, v0
	s_cbranch_execz .LBB20_3
; %bb.1:
	s_clause 0x5
	s_load_dword s12, s[4:5], 0x38
	s_load_dword s0, s[4:5], 0x40
	s_load_dwordx4 s[8:11], s[4:5], 0x20
	s_load_dwordx2 s[2:3], s[4:5], 0x30
	s_load_dwordx2 s[6:7], s[4:5], 0x10
	s_load_dword s4, s[4:5], 0x18
	v_mov_b32_e32 v1, 0
	s_mov_b32 s13, 0
	s_waitcnt lgkmcnt(0)
	s_lshl_b32 s5, s0, 9
	s_inst_prefetch 0x1
	.p2align	6
.LBB20_2:                               ; =>This Inner Loop Header: Depth=1
	v_lshlrev_b64 v[2:3], 2, v[0:1]
	v_lshlrev_b64 v[6:7], 4, v[0:1]
	v_add_nc_u32_e32 v0, s5, v0
	v_add_co_u32 v4, vcc_lo, s10, v2
	v_add_co_ci_u32_e64 v5, null, s11, v3, vcc_lo
	v_add_co_u32 v2, vcc_lo, s2, v2
	v_add_co_ci_u32_e64 v3, null, s3, v3, vcc_lo
	global_load_dword v4, v[4:5], off
	global_load_dword v3, v[2:3], off
	v_add_co_u32 v6, s0, s8, v6
	v_add_co_ci_u32_e64 v7, null, s9, v7, s0
	s_waitcnt vmcnt(1)
	v_subrev_nc_u32_e32 v2, s12, v4
	s_waitcnt vmcnt(0)
	v_subrev_nc_u32_e32 v3, s12, v3
	v_mad_u64_u32 v[2:3], null, v3, s4, v[2:3]
	v_ashrrev_i32_e32 v3, 31, v2
	v_lshlrev_b64 v[2:3], 4, v[2:3]
	v_add_co_u32 v2, vcc_lo, s6, v2
	v_add_co_ci_u32_e64 v3, null, s7, v3, vcc_lo
	v_cmp_le_u32_e32 vcc_lo, s1, v0
	global_load_dwordx4 v[2:5], v[2:3], off
	s_or_b32 s13, vcc_lo, s13
	s_waitcnt vmcnt(0)
	global_store_dwordx4 v[6:7], v[2:5], off
	s_andn2_b32 exec_lo, exec_lo, s13
	s_cbranch_execnz .LBB20_2
.LBB20_3:
	s_inst_prefetch 0x2
	s_endpgm
	.section	.rodata,"a",@progbits
	.p2align	6, 0x0
	.amdhsa_kernel _ZN9rocsparseL24sddmm_coox_sample_kernelILi512ELb0E21rocsparse_complex_numIdEiiS2_EEvT3_S3_T2_PKT4_S3_PS5_PKS4_SA_21rocsparse_index_base_
		.amdhsa_group_segment_fixed_size 0
		.amdhsa_private_segment_fixed_size 0
		.amdhsa_kernarg_size 320
		.amdhsa_user_sgpr_count 6
		.amdhsa_user_sgpr_private_segment_buffer 1
		.amdhsa_user_sgpr_dispatch_ptr 0
		.amdhsa_user_sgpr_queue_ptr 0
		.amdhsa_user_sgpr_kernarg_segment_ptr 1
		.amdhsa_user_sgpr_dispatch_id 0
		.amdhsa_user_sgpr_flat_scratch_init 0
		.amdhsa_user_sgpr_private_segment_size 0
		.amdhsa_wavefront_size32 1
		.amdhsa_uses_dynamic_stack 0
		.amdhsa_system_sgpr_private_segment_wavefront_offset 0
		.amdhsa_system_sgpr_workgroup_id_x 1
		.amdhsa_system_sgpr_workgroup_id_y 0
		.amdhsa_system_sgpr_workgroup_id_z 0
		.amdhsa_system_sgpr_workgroup_info 0
		.amdhsa_system_vgpr_workitem_id 0
		.amdhsa_next_free_vgpr 8
		.amdhsa_next_free_sgpr 14
		.amdhsa_reserve_vcc 1
		.amdhsa_reserve_flat_scratch 0
		.amdhsa_float_round_mode_32 0
		.amdhsa_float_round_mode_16_64 0
		.amdhsa_float_denorm_mode_32 3
		.amdhsa_float_denorm_mode_16_64 3
		.amdhsa_dx10_clamp 1
		.amdhsa_ieee_mode 1
		.amdhsa_fp16_overflow 0
		.amdhsa_workgroup_processor_mode 1
		.amdhsa_memory_ordered 1
		.amdhsa_forward_progress 1
		.amdhsa_shared_vgpr_count 0
		.amdhsa_exception_fp_ieee_invalid_op 0
		.amdhsa_exception_fp_denorm_src 0
		.amdhsa_exception_fp_ieee_div_zero 0
		.amdhsa_exception_fp_ieee_overflow 0
		.amdhsa_exception_fp_ieee_underflow 0
		.amdhsa_exception_fp_ieee_inexact 0
		.amdhsa_exception_int_div_zero 0
	.end_amdhsa_kernel
	.section	.text._ZN9rocsparseL24sddmm_coox_sample_kernelILi512ELb0E21rocsparse_complex_numIdEiiS2_EEvT3_S3_T2_PKT4_S3_PS5_PKS4_SA_21rocsparse_index_base_,"axG",@progbits,_ZN9rocsparseL24sddmm_coox_sample_kernelILi512ELb0E21rocsparse_complex_numIdEiiS2_EEvT3_S3_T2_PKT4_S3_PS5_PKS4_SA_21rocsparse_index_base_,comdat
.Lfunc_end20:
	.size	_ZN9rocsparseL24sddmm_coox_sample_kernelILi512ELb0E21rocsparse_complex_numIdEiiS2_EEvT3_S3_T2_PKT4_S3_PS5_PKS4_SA_21rocsparse_index_base_, .Lfunc_end20-_ZN9rocsparseL24sddmm_coox_sample_kernelILi512ELb0E21rocsparse_complex_numIdEiiS2_EEvT3_S3_T2_PKT4_S3_PS5_PKS4_SA_21rocsparse_index_base_
                                        ; -- End function
	.set _ZN9rocsparseL24sddmm_coox_sample_kernelILi512ELb0E21rocsparse_complex_numIdEiiS2_EEvT3_S3_T2_PKT4_S3_PS5_PKS4_SA_21rocsparse_index_base_.num_vgpr, 8
	.set _ZN9rocsparseL24sddmm_coox_sample_kernelILi512ELb0E21rocsparse_complex_numIdEiiS2_EEvT3_S3_T2_PKT4_S3_PS5_PKS4_SA_21rocsparse_index_base_.num_agpr, 0
	.set _ZN9rocsparseL24sddmm_coox_sample_kernelILi512ELb0E21rocsparse_complex_numIdEiiS2_EEvT3_S3_T2_PKT4_S3_PS5_PKS4_SA_21rocsparse_index_base_.numbered_sgpr, 14
	.set _ZN9rocsparseL24sddmm_coox_sample_kernelILi512ELb0E21rocsparse_complex_numIdEiiS2_EEvT3_S3_T2_PKT4_S3_PS5_PKS4_SA_21rocsparse_index_base_.num_named_barrier, 0
	.set _ZN9rocsparseL24sddmm_coox_sample_kernelILi512ELb0E21rocsparse_complex_numIdEiiS2_EEvT3_S3_T2_PKT4_S3_PS5_PKS4_SA_21rocsparse_index_base_.private_seg_size, 0
	.set _ZN9rocsparseL24sddmm_coox_sample_kernelILi512ELb0E21rocsparse_complex_numIdEiiS2_EEvT3_S3_T2_PKT4_S3_PS5_PKS4_SA_21rocsparse_index_base_.uses_vcc, 1
	.set _ZN9rocsparseL24sddmm_coox_sample_kernelILi512ELb0E21rocsparse_complex_numIdEiiS2_EEvT3_S3_T2_PKT4_S3_PS5_PKS4_SA_21rocsparse_index_base_.uses_flat_scratch, 0
	.set _ZN9rocsparseL24sddmm_coox_sample_kernelILi512ELb0E21rocsparse_complex_numIdEiiS2_EEvT3_S3_T2_PKT4_S3_PS5_PKS4_SA_21rocsparse_index_base_.has_dyn_sized_stack, 0
	.set _ZN9rocsparseL24sddmm_coox_sample_kernelILi512ELb0E21rocsparse_complex_numIdEiiS2_EEvT3_S3_T2_PKT4_S3_PS5_PKS4_SA_21rocsparse_index_base_.has_recursion, 0
	.set _ZN9rocsparseL24sddmm_coox_sample_kernelILi512ELb0E21rocsparse_complex_numIdEiiS2_EEvT3_S3_T2_PKT4_S3_PS5_PKS4_SA_21rocsparse_index_base_.has_indirect_call, 0
	.section	.AMDGPU.csdata,"",@progbits
; Kernel info:
; codeLenInByte = 308
; TotalNumSgprs: 16
; NumVgprs: 8
; ScratchSize: 0
; MemoryBound: 0
; FloatMode: 240
; IeeeMode: 1
; LDSByteSize: 0 bytes/workgroup (compile time only)
; SGPRBlocks: 0
; VGPRBlocks: 0
; NumSGPRsForWavesPerEU: 16
; NumVGPRsForWavesPerEU: 8
; Occupancy: 16
; WaveLimiterHint : 0
; COMPUTE_PGM_RSRC2:SCRATCH_EN: 0
; COMPUTE_PGM_RSRC2:USER_SGPR: 6
; COMPUTE_PGM_RSRC2:TRAP_HANDLER: 0
; COMPUTE_PGM_RSRC2:TGID_X_EN: 1
; COMPUTE_PGM_RSRC2:TGID_Y_EN: 0
; COMPUTE_PGM_RSRC2:TGID_Z_EN: 0
; COMPUTE_PGM_RSRC2:TIDIG_COMP_CNT: 0
	.section	.text._ZN9rocsparseL17sddmm_coox_kernelILi512ELi8ELb0E21rocsparse_complex_numIdEiiS2_S2_S2_EEv20rocsparse_operation_S3_16rocsparse_order_S4_T4_S5_S5_T3_NS_24const_host_device_scalarIT2_EEPKT5_lPKT6_lS9_PT7_PKS6_SJ_21rocsparse_index_base_b,"axG",@progbits,_ZN9rocsparseL17sddmm_coox_kernelILi512ELi8ELb0E21rocsparse_complex_numIdEiiS2_S2_S2_EEv20rocsparse_operation_S3_16rocsparse_order_S4_T4_S5_S5_T3_NS_24const_host_device_scalarIT2_EEPKT5_lPKT6_lS9_PT7_PKS6_SJ_21rocsparse_index_base_b,comdat
	.globl	_ZN9rocsparseL17sddmm_coox_kernelILi512ELi8ELb0E21rocsparse_complex_numIdEiiS2_S2_S2_EEv20rocsparse_operation_S3_16rocsparse_order_S4_T4_S5_S5_T3_NS_24const_host_device_scalarIT2_EEPKT5_lPKT6_lS9_PT7_PKS6_SJ_21rocsparse_index_base_b ; -- Begin function _ZN9rocsparseL17sddmm_coox_kernelILi512ELi8ELb0E21rocsparse_complex_numIdEiiS2_S2_S2_EEv20rocsparse_operation_S3_16rocsparse_order_S4_T4_S5_S5_T3_NS_24const_host_device_scalarIT2_EEPKT5_lPKT6_lS9_PT7_PKS6_SJ_21rocsparse_index_base_b
	.p2align	8
	.type	_ZN9rocsparseL17sddmm_coox_kernelILi512ELi8ELb0E21rocsparse_complex_numIdEiiS2_S2_S2_EEv20rocsparse_operation_S3_16rocsparse_order_S4_T4_S5_S5_T3_NS_24const_host_device_scalarIT2_EEPKT5_lPKT6_lS9_PT7_PKS6_SJ_21rocsparse_index_base_b,@function
_ZN9rocsparseL17sddmm_coox_kernelILi512ELi8ELb0E21rocsparse_complex_numIdEiiS2_S2_S2_EEv20rocsparse_operation_S3_16rocsparse_order_S4_T4_S5_S5_T3_NS_24const_host_device_scalarIT2_EEPKT5_lPKT6_lS9_PT7_PKS6_SJ_21rocsparse_index_base_b: ; @_ZN9rocsparseL17sddmm_coox_kernelILi512ELi8ELb0E21rocsparse_complex_numIdEiiS2_S2_S2_EEv20rocsparse_operation_S3_16rocsparse_order_S4_T4_S5_S5_T3_NS_24const_host_device_scalarIT2_EEPKT5_lPKT6_lS9_PT7_PKS6_SJ_21rocsparse_index_base_b
; %bb.0:
	s_clause 0x1
	s_load_dwordx2 s[12:13], s[4:5], 0x78
	s_load_dwordx2 s[0:1], s[4:5], 0x20
	s_add_u32 s2, s4, 32
	s_addc_u32 s3, s5, 0
	s_add_u32 s7, s4, 0x50
	s_addc_u32 s14, s5, 0
	s_load_dwordx4 s[8:11], s[4:5], 0x48
	s_waitcnt lgkmcnt(0)
	s_bitcmp1_b32 s13, 0
	s_cselect_b32 s0, s2, s0
	s_cselect_b32 s1, s3, s1
	v_mov_b32_e32 v1, s0
	v_mov_b32_e32 v2, s1
	s_cselect_b32 s0, s7, s10
	s_cselect_b32 s1, s14, s11
	v_mov_b32_e32 v5, s0
	v_mov_b32_e32 v6, s1
	flat_load_dwordx4 v[1:4], v[1:2]
	flat_load_dwordx4 v[5:8], v[5:6]
	s_waitcnt vmcnt(1) lgkmcnt(1)
	v_cmp_eq_f64_e32 vcc_lo, 0, v[1:2]
	v_cmp_eq_f64_e64 s0, 0, v[3:4]
	s_and_b32 s2, vcc_lo, s0
	s_mov_b32 s0, -1
	s_and_saveexec_b32 s1, s2
	s_cbranch_execz .LBB21_2
; %bb.1:
	s_waitcnt vmcnt(0) lgkmcnt(0)
	v_cmp_neq_f64_e32 vcc_lo, 1.0, v[5:6]
	v_cmp_neq_f64_e64 s0, 0, v[7:8]
	s_or_b32 s0, vcc_lo, s0
	s_orn2_b32 s0, s0, exec_lo
.LBB21_2:
	s_or_b32 exec_lo, exec_lo, s1
	s_and_saveexec_b32 s1, s0
	s_cbranch_execz .LBB21_32
; %bb.3:
	s_load_dwordx2 s[10:11], s[4:5], 0x18
	v_lshrrev_b32_e32 v19, 3, v0
	v_lshl_or_b32 v13, s6, 6, v19
	s_waitcnt lgkmcnt(0)
	v_cmp_gt_i32_e32 vcc_lo, s11, v13
	s_and_b32 exec_lo, exec_lo, vcc_lo
	s_cbranch_execz .LBB21_32
; %bb.4:
	s_load_dwordx4 s[0:3], s[4:5], 0x68
	v_ashrrev_i32_e32 v14, 31, v13
	v_lshlrev_b64 v[9:10], 2, v[13:14]
	s_waitcnt lgkmcnt(0)
	v_add_co_u32 v11, vcc_lo, s0, v9
	v_add_co_ci_u32_e64 v12, null, s1, v10, vcc_lo
	v_add_co_u32 v9, vcc_lo, s2, v9
	v_add_co_ci_u32_e64 v10, null, s3, v10, vcc_lo
	global_load_dword v12, v[11:12], off
	global_load_dword v11, v[9:10], off
	s_clause 0x1
	s_load_dwordx4 s[0:3], s[4:5], 0x0
	s_load_dwordx2 s[6:7], s[4:5], 0x38
	s_waitcnt lgkmcnt(0)
	s_cmp_eq_u32 s2, 1
	s_cselect_b32 s11, -1, 0
	s_cmpk_eq_i32 s0, 0x6f
	s_cselect_b32 s13, -1, 0
	s_cmpk_lg_i32 s0, 0x6f
	s_cselect_b32 s0, -1, 0
	s_cmp_lg_u32 s2, 1
	s_waitcnt vmcnt(1)
	v_subrev_nc_u32_e32 v9, s12, v12
	v_ashrrev_i32_e32 v10, 31, v9
	s_cbranch_scc0 .LBB21_8
; %bb.5:
	v_mov_b32_e32 v16, v10
	v_mov_b32_e32 v15, v9
	s_andn2_b32 vcc_lo, exec_lo, s13
	s_cbranch_vccnz .LBB21_7
; %bb.6:
	v_mul_lo_u32 v12, s7, v9
	v_mul_lo_u32 v17, s6, v10
	v_mad_u64_u32 v[15:16], null, s6, v9, 0
	v_add3_u32 v16, v16, v17, v12
.LBB21_7:
	s_cbranch_execz .LBB21_9
	s_branch .LBB21_12
.LBB21_8:
                                        ; implicit-def: $vgpr15_vgpr16
.LBB21_9:
	s_andn2_b32 vcc_lo, exec_lo, s0
	s_cbranch_vccnz .LBB21_11
; %bb.10:
	v_mul_lo_u32 v12, s7, v9
	v_mul_lo_u32 v15, s6, v10
	v_mad_u64_u32 v[9:10], null, s6, v9, 0
	v_add3_u32 v10, v10, v15, v12
.LBB21_11:
	v_mov_b32_e32 v16, v10
	v_mov_b32_e32 v15, v9
.LBB21_12:
	s_waitcnt vmcnt(0)
	v_subrev_nc_u32_e32 v9, s12, v11
	s_cmp_eq_u32 s3, 1
	s_cselect_b32 s7, -1, 0
	s_cmpk_eq_i32 s1, 0x6f
	v_ashrrev_i32_e32 v10, 31, v9
	s_cselect_b32 s12, -1, 0
	s_cmpk_lg_i32 s1, 0x6f
	s_cselect_b32 s0, -1, 0
	s_cmp_lg_u32 s3, 1
	s_cbranch_scc0 .LBB21_16
; %bb.13:
	v_mov_b32_e32 v18, v10
	v_mov_b32_e32 v17, v9
	s_andn2_b32 vcc_lo, exec_lo, s0
	s_cbranch_vccnz .LBB21_15
; %bb.14:
	v_mul_lo_u32 v11, s9, v9
	v_mul_lo_u32 v12, s8, v10
	v_mad_u64_u32 v[17:18], null, s8, v9, 0
	v_add3_u32 v18, v18, v12, v11
.LBB21_15:
	s_cbranch_execz .LBB21_17
	s_branch .LBB21_20
.LBB21_16:
                                        ; implicit-def: $vgpr17_vgpr18
.LBB21_17:
	s_andn2_b32 vcc_lo, exec_lo, s12
	s_cbranch_vccnz .LBB21_19
; %bb.18:
	v_mul_lo_u32 v11, s9, v9
	v_mul_lo_u32 v12, s8, v10
	v_mad_u64_u32 v[9:10], null, s8, v9, 0
	v_add3_u32 v10, v10, v12, v11
.LBB21_19:
	v_mov_b32_e32 v18, v10
	v_mov_b32_e32 v17, v9
.LBB21_20:
	s_load_dwordx2 s[0:1], s[4:5], 0x60
	v_mov_b32_e32 v11, 0
	v_mov_b32_e32 v9, 0
	v_and_b32_e32 v0, 7, v0
	v_mov_b32_e32 v12, 0
	v_mov_b32_e32 v10, 0
	s_mov_b32 s2, exec_lo
	v_cmpx_gt_i32_e64 s10, v0
	s_cbranch_execz .LBB21_24
; %bb.21:
	s_clause 0x1
	s_load_dwordx2 s[14:15], s[4:5], 0x40
	s_load_dwordx2 s[4:5], s[4:5], 0x30
	s_xor_b32 s3, s13, s11
	v_lshlrev_b64 v[9:10], 4, v[17:18]
	s_and_b32 s3, s3, exec_lo
	v_lshlrev_b64 v[22:23], 4, v[15:16]
	s_cselect_b32 s6, 1, s6
	s_xor_b32 s3, s12, s7
	v_mov_b32_e32 v11, 0
	s_and_b32 s3, s3, exec_lo
	v_mov_b32_e32 v12, 0
	s_cselect_b32 s3, s8, 1
	v_mul_lo_u32 v15, s6, v0
	v_mul_lo_u32 v17, s3, v0
	v_mov_b32_e32 v24, v0
	s_lshl_b32 s3, s3, 3
	s_waitcnt lgkmcnt(0)
	v_add_co_u32 v20, vcc_lo, s14, v9
	v_add_co_ci_u32_e64 v21, null, s15, v10, vcc_lo
	v_add_co_u32 v22, vcc_lo, s4, v22
	v_mov_b32_e32 v9, v11
	v_add_co_ci_u32_e64 v23, null, s5, v23, vcc_lo
	v_mov_b32_e32 v10, v12
	s_lshl_b32 s5, s6, 3
	s_mov_b32 s4, 0
	s_inst_prefetch 0x1
	.p2align	6
.LBB21_22:                              ; =>This Inner Loop Header: Depth=1
	v_ashrrev_i32_e32 v18, 31, v17
	v_ashrrev_i32_e32 v16, 31, v15
	v_add_nc_u32_e32 v24, 8, v24
	v_lshlrev_b64 v[25:26], 4, v[17:18]
	v_lshlrev_b64 v[27:28], 4, v[15:16]
	v_add_nc_u32_e32 v17, s3, v17
	v_add_nc_u32_e32 v15, s5, v15
	v_add_co_u32 v25, vcc_lo, v20, v25
	v_add_co_ci_u32_e64 v26, null, v21, v26, vcc_lo
	v_add_co_u32 v29, vcc_lo, v22, v27
	v_add_co_ci_u32_e64 v30, null, v23, v28, vcc_lo
	global_load_dwordx4 v[25:28], v[25:26], off
	global_load_dwordx4 v[29:32], v[29:30], off
	v_cmp_le_i32_e32 vcc_lo, s10, v24
	s_or_b32 s4, vcc_lo, s4
	s_waitcnt vmcnt(0)
	v_mul_f64 v[33:34], v[27:28], -v[31:32]
	v_mul_f64 v[27:28], v[27:28], v[29:30]
	v_fma_f64 v[29:30], v[29:30], v[25:26], v[33:34]
	v_fma_f64 v[25:26], v[31:32], v[25:26], v[27:28]
	v_add_f64 v[9:10], v[9:10], v[29:30]
	v_add_f64 v[11:12], v[11:12], v[25:26]
	s_andn2_b32 exec_lo, exec_lo, s4
	s_cbranch_execnz .LBB21_22
; %bb.23:
	s_inst_prefetch 0x2
	s_or_b32 exec_lo, exec_lo, s4
.LBB21_24:
	s_or_b32 exec_lo, exec_lo, s2
	v_lshlrev_b32_e32 v15, 7, v19
	s_mov_b32 s2, exec_lo
	v_lshl_or_b32 v16, v0, 4, v15
	ds_write_b128 v16, v[9:12]
	s_waitcnt lgkmcnt(0)
	s_barrier
	buffer_gl0_inv
	v_cmpx_gt_u32_e32 4, v0
	s_cbranch_execz .LBB21_26
; %bb.25:
	ds_read_b128 v[9:12], v16 offset:64
	ds_read_b128 v[17:20], v16
	s_waitcnt lgkmcnt(0)
	v_add_f64 v[9:10], v[9:10], v[17:18]
	v_add_f64 v[11:12], v[11:12], v[19:20]
	ds_write_b128 v16, v[9:12]
.LBB21_26:
	s_or_b32 exec_lo, exec_lo, s2
	s_mov_b32 s2, exec_lo
	s_waitcnt lgkmcnt(0)
	s_barrier
	buffer_gl0_inv
	v_cmpx_gt_u32_e32 2, v0
	s_cbranch_execz .LBB21_28
; %bb.27:
	ds_read_b128 v[9:12], v16
	ds_read_b128 v[17:20], v16 offset:32
	s_waitcnt lgkmcnt(0)
	v_add_f64 v[9:10], v[17:18], v[9:10]
	v_add_f64 v[11:12], v[19:20], v[11:12]
	ds_write_b128 v16, v[9:12]
.LBB21_28:
	s_or_b32 exec_lo, exec_lo, s2
	v_cmp_eq_u32_e32 vcc_lo, 0, v0
	s_waitcnt lgkmcnt(0)
	s_barrier
	buffer_gl0_inv
	s_and_saveexec_b32 s2, vcc_lo
	s_cbranch_execz .LBB21_30
; %bb.29:
	ds_read_b128 v[9:12], v16
	ds_read_b128 v[17:20], v16 offset:16
	s_waitcnt lgkmcnt(0)
	v_add_f64 v[9:10], v[17:18], v[9:10]
	v_add_f64 v[11:12], v[19:20], v[11:12]
	ds_write_b128 v16, v[9:12]
.LBB21_30:
	s_or_b32 exec_lo, exec_lo, s2
	s_waitcnt lgkmcnt(0)
	s_barrier
	buffer_gl0_inv
	s_and_b32 exec_lo, exec_lo, vcc_lo
	s_cbranch_execz .LBB21_32
; %bb.31:
	v_lshlrev_b64 v[9:10], 4, v[13:14]
	ds_read_b128 v[13:16], v15
	v_add_co_u32 v17, vcc_lo, s0, v9
	v_add_co_ci_u32_e64 v18, null, s1, v10, vcc_lo
	global_load_dwordx4 v[9:12], v[17:18], off
	s_waitcnt lgkmcnt(0)
	v_mul_f64 v[19:20], v[15:16], -v[3:4]
	v_mul_f64 v[15:16], v[1:2], v[15:16]
	v_fma_f64 v[0:1], v[1:2], v[13:14], v[19:20]
	v_fma_f64 v[2:3], v[3:4], v[13:14], v[15:16]
	s_waitcnt vmcnt(0)
	v_mul_f64 v[21:22], v[7:8], -v[11:12]
	v_mul_f64 v[7:8], v[7:8], v[9:10]
	v_fma_f64 v[9:10], v[9:10], v[5:6], v[21:22]
	v_fma_f64 v[4:5], v[11:12], v[5:6], v[7:8]
	v_add_f64 v[0:1], v[9:10], v[0:1]
	v_add_f64 v[2:3], v[4:5], v[2:3]
	global_store_dwordx4 v[17:18], v[0:3], off
.LBB21_32:
	s_endpgm
	.section	.rodata,"a",@progbits
	.p2align	6, 0x0
	.amdhsa_kernel _ZN9rocsparseL17sddmm_coox_kernelILi512ELi8ELb0E21rocsparse_complex_numIdEiiS2_S2_S2_EEv20rocsparse_operation_S3_16rocsparse_order_S4_T4_S5_S5_T3_NS_24const_host_device_scalarIT2_EEPKT5_lPKT6_lS9_PT7_PKS6_SJ_21rocsparse_index_base_b
		.amdhsa_group_segment_fixed_size 8192
		.amdhsa_private_segment_fixed_size 0
		.amdhsa_kernarg_size 128
		.amdhsa_user_sgpr_count 6
		.amdhsa_user_sgpr_private_segment_buffer 1
		.amdhsa_user_sgpr_dispatch_ptr 0
		.amdhsa_user_sgpr_queue_ptr 0
		.amdhsa_user_sgpr_kernarg_segment_ptr 1
		.amdhsa_user_sgpr_dispatch_id 0
		.amdhsa_user_sgpr_flat_scratch_init 0
		.amdhsa_user_sgpr_private_segment_size 0
		.amdhsa_wavefront_size32 1
		.amdhsa_uses_dynamic_stack 0
		.amdhsa_system_sgpr_private_segment_wavefront_offset 0
		.amdhsa_system_sgpr_workgroup_id_x 1
		.amdhsa_system_sgpr_workgroup_id_y 0
		.amdhsa_system_sgpr_workgroup_id_z 0
		.amdhsa_system_sgpr_workgroup_info 0
		.amdhsa_system_vgpr_workitem_id 0
		.amdhsa_next_free_vgpr 35
		.amdhsa_next_free_sgpr 16
		.amdhsa_reserve_vcc 1
		.amdhsa_reserve_flat_scratch 0
		.amdhsa_float_round_mode_32 0
		.amdhsa_float_round_mode_16_64 0
		.amdhsa_float_denorm_mode_32 3
		.amdhsa_float_denorm_mode_16_64 3
		.amdhsa_dx10_clamp 1
		.amdhsa_ieee_mode 1
		.amdhsa_fp16_overflow 0
		.amdhsa_workgroup_processor_mode 1
		.amdhsa_memory_ordered 1
		.amdhsa_forward_progress 1
		.amdhsa_shared_vgpr_count 0
		.amdhsa_exception_fp_ieee_invalid_op 0
		.amdhsa_exception_fp_denorm_src 0
		.amdhsa_exception_fp_ieee_div_zero 0
		.amdhsa_exception_fp_ieee_overflow 0
		.amdhsa_exception_fp_ieee_underflow 0
		.amdhsa_exception_fp_ieee_inexact 0
		.amdhsa_exception_int_div_zero 0
	.end_amdhsa_kernel
	.section	.text._ZN9rocsparseL17sddmm_coox_kernelILi512ELi8ELb0E21rocsparse_complex_numIdEiiS2_S2_S2_EEv20rocsparse_operation_S3_16rocsparse_order_S4_T4_S5_S5_T3_NS_24const_host_device_scalarIT2_EEPKT5_lPKT6_lS9_PT7_PKS6_SJ_21rocsparse_index_base_b,"axG",@progbits,_ZN9rocsparseL17sddmm_coox_kernelILi512ELi8ELb0E21rocsparse_complex_numIdEiiS2_S2_S2_EEv20rocsparse_operation_S3_16rocsparse_order_S4_T4_S5_S5_T3_NS_24const_host_device_scalarIT2_EEPKT5_lPKT6_lS9_PT7_PKS6_SJ_21rocsparse_index_base_b,comdat
.Lfunc_end21:
	.size	_ZN9rocsparseL17sddmm_coox_kernelILi512ELi8ELb0E21rocsparse_complex_numIdEiiS2_S2_S2_EEv20rocsparse_operation_S3_16rocsparse_order_S4_T4_S5_S5_T3_NS_24const_host_device_scalarIT2_EEPKT5_lPKT6_lS9_PT7_PKS6_SJ_21rocsparse_index_base_b, .Lfunc_end21-_ZN9rocsparseL17sddmm_coox_kernelILi512ELi8ELb0E21rocsparse_complex_numIdEiiS2_S2_S2_EEv20rocsparse_operation_S3_16rocsparse_order_S4_T4_S5_S5_T3_NS_24const_host_device_scalarIT2_EEPKT5_lPKT6_lS9_PT7_PKS6_SJ_21rocsparse_index_base_b
                                        ; -- End function
	.set _ZN9rocsparseL17sddmm_coox_kernelILi512ELi8ELb0E21rocsparse_complex_numIdEiiS2_S2_S2_EEv20rocsparse_operation_S3_16rocsparse_order_S4_T4_S5_S5_T3_NS_24const_host_device_scalarIT2_EEPKT5_lPKT6_lS9_PT7_PKS6_SJ_21rocsparse_index_base_b.num_vgpr, 35
	.set _ZN9rocsparseL17sddmm_coox_kernelILi512ELi8ELb0E21rocsparse_complex_numIdEiiS2_S2_S2_EEv20rocsparse_operation_S3_16rocsparse_order_S4_T4_S5_S5_T3_NS_24const_host_device_scalarIT2_EEPKT5_lPKT6_lS9_PT7_PKS6_SJ_21rocsparse_index_base_b.num_agpr, 0
	.set _ZN9rocsparseL17sddmm_coox_kernelILi512ELi8ELb0E21rocsparse_complex_numIdEiiS2_S2_S2_EEv20rocsparse_operation_S3_16rocsparse_order_S4_T4_S5_S5_T3_NS_24const_host_device_scalarIT2_EEPKT5_lPKT6_lS9_PT7_PKS6_SJ_21rocsparse_index_base_b.numbered_sgpr, 16
	.set _ZN9rocsparseL17sddmm_coox_kernelILi512ELi8ELb0E21rocsparse_complex_numIdEiiS2_S2_S2_EEv20rocsparse_operation_S3_16rocsparse_order_S4_T4_S5_S5_T3_NS_24const_host_device_scalarIT2_EEPKT5_lPKT6_lS9_PT7_PKS6_SJ_21rocsparse_index_base_b.num_named_barrier, 0
	.set _ZN9rocsparseL17sddmm_coox_kernelILi512ELi8ELb0E21rocsparse_complex_numIdEiiS2_S2_S2_EEv20rocsparse_operation_S3_16rocsparse_order_S4_T4_S5_S5_T3_NS_24const_host_device_scalarIT2_EEPKT5_lPKT6_lS9_PT7_PKS6_SJ_21rocsparse_index_base_b.private_seg_size, 0
	.set _ZN9rocsparseL17sddmm_coox_kernelILi512ELi8ELb0E21rocsparse_complex_numIdEiiS2_S2_S2_EEv20rocsparse_operation_S3_16rocsparse_order_S4_T4_S5_S5_T3_NS_24const_host_device_scalarIT2_EEPKT5_lPKT6_lS9_PT7_PKS6_SJ_21rocsparse_index_base_b.uses_vcc, 1
	.set _ZN9rocsparseL17sddmm_coox_kernelILi512ELi8ELb0E21rocsparse_complex_numIdEiiS2_S2_S2_EEv20rocsparse_operation_S3_16rocsparse_order_S4_T4_S5_S5_T3_NS_24const_host_device_scalarIT2_EEPKT5_lPKT6_lS9_PT7_PKS6_SJ_21rocsparse_index_base_b.uses_flat_scratch, 0
	.set _ZN9rocsparseL17sddmm_coox_kernelILi512ELi8ELb0E21rocsparse_complex_numIdEiiS2_S2_S2_EEv20rocsparse_operation_S3_16rocsparse_order_S4_T4_S5_S5_T3_NS_24const_host_device_scalarIT2_EEPKT5_lPKT6_lS9_PT7_PKS6_SJ_21rocsparse_index_base_b.has_dyn_sized_stack, 0
	.set _ZN9rocsparseL17sddmm_coox_kernelILi512ELi8ELb0E21rocsparse_complex_numIdEiiS2_S2_S2_EEv20rocsparse_operation_S3_16rocsparse_order_S4_T4_S5_S5_T3_NS_24const_host_device_scalarIT2_EEPKT5_lPKT6_lS9_PT7_PKS6_SJ_21rocsparse_index_base_b.has_recursion, 0
	.set _ZN9rocsparseL17sddmm_coox_kernelILi512ELi8ELb0E21rocsparse_complex_numIdEiiS2_S2_S2_EEv20rocsparse_operation_S3_16rocsparse_order_S4_T4_S5_S5_T3_NS_24const_host_device_scalarIT2_EEPKT5_lPKT6_lS9_PT7_PKS6_SJ_21rocsparse_index_base_b.has_indirect_call, 0
	.section	.AMDGPU.csdata,"",@progbits
; Kernel info:
; codeLenInByte = 1408
; TotalNumSgprs: 18
; NumVgprs: 35
; ScratchSize: 0
; MemoryBound: 0
; FloatMode: 240
; IeeeMode: 1
; LDSByteSize: 8192 bytes/workgroup (compile time only)
; SGPRBlocks: 0
; VGPRBlocks: 4
; NumSGPRsForWavesPerEU: 18
; NumVGPRsForWavesPerEU: 35
; Occupancy: 16
; WaveLimiterHint : 0
; COMPUTE_PGM_RSRC2:SCRATCH_EN: 0
; COMPUTE_PGM_RSRC2:USER_SGPR: 6
; COMPUTE_PGM_RSRC2:TRAP_HANDLER: 0
; COMPUTE_PGM_RSRC2:TGID_X_EN: 1
; COMPUTE_PGM_RSRC2:TGID_Y_EN: 0
; COMPUTE_PGM_RSRC2:TGID_Z_EN: 0
; COMPUTE_PGM_RSRC2:TIDIG_COMP_CNT: 0
	.section	.text._ZN9rocsparseL17sddmm_coox_kernelILi512ELi4ELb0E21rocsparse_complex_numIdEiiS2_S2_S2_EEv20rocsparse_operation_S3_16rocsparse_order_S4_T4_S5_S5_T3_NS_24const_host_device_scalarIT2_EEPKT5_lPKT6_lS9_PT7_PKS6_SJ_21rocsparse_index_base_b,"axG",@progbits,_ZN9rocsparseL17sddmm_coox_kernelILi512ELi4ELb0E21rocsparse_complex_numIdEiiS2_S2_S2_EEv20rocsparse_operation_S3_16rocsparse_order_S4_T4_S5_S5_T3_NS_24const_host_device_scalarIT2_EEPKT5_lPKT6_lS9_PT7_PKS6_SJ_21rocsparse_index_base_b,comdat
	.globl	_ZN9rocsparseL17sddmm_coox_kernelILi512ELi4ELb0E21rocsparse_complex_numIdEiiS2_S2_S2_EEv20rocsparse_operation_S3_16rocsparse_order_S4_T4_S5_S5_T3_NS_24const_host_device_scalarIT2_EEPKT5_lPKT6_lS9_PT7_PKS6_SJ_21rocsparse_index_base_b ; -- Begin function _ZN9rocsparseL17sddmm_coox_kernelILi512ELi4ELb0E21rocsparse_complex_numIdEiiS2_S2_S2_EEv20rocsparse_operation_S3_16rocsparse_order_S4_T4_S5_S5_T3_NS_24const_host_device_scalarIT2_EEPKT5_lPKT6_lS9_PT7_PKS6_SJ_21rocsparse_index_base_b
	.p2align	8
	.type	_ZN9rocsparseL17sddmm_coox_kernelILi512ELi4ELb0E21rocsparse_complex_numIdEiiS2_S2_S2_EEv20rocsparse_operation_S3_16rocsparse_order_S4_T4_S5_S5_T3_NS_24const_host_device_scalarIT2_EEPKT5_lPKT6_lS9_PT7_PKS6_SJ_21rocsparse_index_base_b,@function
_ZN9rocsparseL17sddmm_coox_kernelILi512ELi4ELb0E21rocsparse_complex_numIdEiiS2_S2_S2_EEv20rocsparse_operation_S3_16rocsparse_order_S4_T4_S5_S5_T3_NS_24const_host_device_scalarIT2_EEPKT5_lPKT6_lS9_PT7_PKS6_SJ_21rocsparse_index_base_b: ; @_ZN9rocsparseL17sddmm_coox_kernelILi512ELi4ELb0E21rocsparse_complex_numIdEiiS2_S2_S2_EEv20rocsparse_operation_S3_16rocsparse_order_S4_T4_S5_S5_T3_NS_24const_host_device_scalarIT2_EEPKT5_lPKT6_lS9_PT7_PKS6_SJ_21rocsparse_index_base_b
; %bb.0:
	s_clause 0x1
	s_load_dwordx2 s[12:13], s[4:5], 0x78
	s_load_dwordx2 s[0:1], s[4:5], 0x20
	s_add_u32 s2, s4, 32
	s_addc_u32 s3, s5, 0
	s_add_u32 s7, s4, 0x50
	s_addc_u32 s14, s5, 0
	s_load_dwordx4 s[8:11], s[4:5], 0x48
	s_waitcnt lgkmcnt(0)
	s_bitcmp1_b32 s13, 0
	s_cselect_b32 s0, s2, s0
	s_cselect_b32 s1, s3, s1
	v_mov_b32_e32 v1, s0
	v_mov_b32_e32 v2, s1
	s_cselect_b32 s0, s7, s10
	s_cselect_b32 s1, s14, s11
	v_mov_b32_e32 v5, s0
	v_mov_b32_e32 v6, s1
	flat_load_dwordx4 v[1:4], v[1:2]
	flat_load_dwordx4 v[5:8], v[5:6]
	s_waitcnt vmcnt(1) lgkmcnt(1)
	v_cmp_eq_f64_e32 vcc_lo, 0, v[1:2]
	v_cmp_eq_f64_e64 s0, 0, v[3:4]
	s_and_b32 s2, vcc_lo, s0
	s_mov_b32 s0, -1
	s_and_saveexec_b32 s1, s2
	s_cbranch_execz .LBB22_2
; %bb.1:
	s_waitcnt vmcnt(0) lgkmcnt(0)
	v_cmp_neq_f64_e32 vcc_lo, 1.0, v[5:6]
	v_cmp_neq_f64_e64 s0, 0, v[7:8]
	s_or_b32 s0, vcc_lo, s0
	s_orn2_b32 s0, s0, exec_lo
.LBB22_2:
	s_or_b32 exec_lo, exec_lo, s1
	s_and_saveexec_b32 s1, s0
	s_cbranch_execz .LBB22_30
; %bb.3:
	s_load_dwordx2 s[10:11], s[4:5], 0x18
	v_lshrrev_b32_e32 v19, 2, v0
	v_lshl_or_b32 v13, s6, 7, v19
	s_waitcnt lgkmcnt(0)
	v_cmp_gt_i32_e32 vcc_lo, s11, v13
	s_and_b32 exec_lo, exec_lo, vcc_lo
	s_cbranch_execz .LBB22_30
; %bb.4:
	s_load_dwordx4 s[0:3], s[4:5], 0x68
	v_ashrrev_i32_e32 v14, 31, v13
	v_lshlrev_b64 v[9:10], 2, v[13:14]
	s_waitcnt lgkmcnt(0)
	v_add_co_u32 v11, vcc_lo, s0, v9
	v_add_co_ci_u32_e64 v12, null, s1, v10, vcc_lo
	v_add_co_u32 v9, vcc_lo, s2, v9
	v_add_co_ci_u32_e64 v10, null, s3, v10, vcc_lo
	global_load_dword v12, v[11:12], off
	global_load_dword v11, v[9:10], off
	s_clause 0x1
	s_load_dwordx4 s[0:3], s[4:5], 0x0
	s_load_dwordx2 s[6:7], s[4:5], 0x38
	s_waitcnt lgkmcnt(0)
	s_cmp_eq_u32 s2, 1
	s_cselect_b32 s11, -1, 0
	s_cmpk_eq_i32 s0, 0x6f
	s_cselect_b32 s13, -1, 0
	s_cmpk_lg_i32 s0, 0x6f
	s_cselect_b32 s0, -1, 0
	s_cmp_lg_u32 s2, 1
	s_waitcnt vmcnt(1)
	v_subrev_nc_u32_e32 v9, s12, v12
	v_ashrrev_i32_e32 v10, 31, v9
	s_cbranch_scc0 .LBB22_8
; %bb.5:
	v_mov_b32_e32 v16, v10
	v_mov_b32_e32 v15, v9
	s_andn2_b32 vcc_lo, exec_lo, s13
	s_cbranch_vccnz .LBB22_7
; %bb.6:
	v_mul_lo_u32 v12, s7, v9
	v_mul_lo_u32 v17, s6, v10
	v_mad_u64_u32 v[15:16], null, s6, v9, 0
	v_add3_u32 v16, v16, v17, v12
.LBB22_7:
	s_cbranch_execz .LBB22_9
	s_branch .LBB22_12
.LBB22_8:
                                        ; implicit-def: $vgpr15_vgpr16
.LBB22_9:
	s_andn2_b32 vcc_lo, exec_lo, s0
	s_cbranch_vccnz .LBB22_11
; %bb.10:
	v_mul_lo_u32 v12, s7, v9
	v_mul_lo_u32 v15, s6, v10
	v_mad_u64_u32 v[9:10], null, s6, v9, 0
	v_add3_u32 v10, v10, v15, v12
.LBB22_11:
	v_mov_b32_e32 v16, v10
	v_mov_b32_e32 v15, v9
.LBB22_12:
	s_waitcnt vmcnt(0)
	v_subrev_nc_u32_e32 v9, s12, v11
	s_cmp_eq_u32 s3, 1
	s_cselect_b32 s7, -1, 0
	s_cmpk_eq_i32 s1, 0x6f
	v_ashrrev_i32_e32 v10, 31, v9
	s_cselect_b32 s12, -1, 0
	s_cmpk_lg_i32 s1, 0x6f
	s_cselect_b32 s0, -1, 0
	s_cmp_lg_u32 s3, 1
	s_cbranch_scc0 .LBB22_16
; %bb.13:
	v_mov_b32_e32 v18, v10
	v_mov_b32_e32 v17, v9
	s_andn2_b32 vcc_lo, exec_lo, s0
	s_cbranch_vccnz .LBB22_15
; %bb.14:
	v_mul_lo_u32 v11, s9, v9
	v_mul_lo_u32 v12, s8, v10
	v_mad_u64_u32 v[17:18], null, s8, v9, 0
	v_add3_u32 v18, v18, v12, v11
.LBB22_15:
	s_cbranch_execz .LBB22_17
	s_branch .LBB22_20
.LBB22_16:
                                        ; implicit-def: $vgpr17_vgpr18
.LBB22_17:
	s_andn2_b32 vcc_lo, exec_lo, s12
	s_cbranch_vccnz .LBB22_19
; %bb.18:
	v_mul_lo_u32 v11, s9, v9
	v_mul_lo_u32 v12, s8, v10
	v_mad_u64_u32 v[9:10], null, s8, v9, 0
	v_add3_u32 v10, v10, v12, v11
.LBB22_19:
	v_mov_b32_e32 v18, v10
	v_mov_b32_e32 v17, v9
.LBB22_20:
	s_load_dwordx2 s[0:1], s[4:5], 0x60
	v_mov_b32_e32 v11, 0
	v_mov_b32_e32 v9, 0
	v_and_b32_e32 v0, 3, v0
	v_mov_b32_e32 v12, 0
	v_mov_b32_e32 v10, 0
	s_mov_b32 s2, exec_lo
	v_cmpx_gt_i32_e64 s10, v0
	s_cbranch_execz .LBB22_24
; %bb.21:
	s_clause 0x1
	s_load_dwordx2 s[14:15], s[4:5], 0x40
	s_load_dwordx2 s[4:5], s[4:5], 0x30
	s_xor_b32 s3, s13, s11
	v_lshlrev_b64 v[9:10], 4, v[17:18]
	s_and_b32 s3, s3, exec_lo
	v_lshlrev_b64 v[22:23], 4, v[15:16]
	s_cselect_b32 s6, 1, s6
	s_xor_b32 s3, s12, s7
	v_mov_b32_e32 v11, 0
	s_and_b32 s3, s3, exec_lo
	v_mov_b32_e32 v12, 0
	s_cselect_b32 s3, s8, 1
	v_mul_lo_u32 v15, s6, v0
	v_mul_lo_u32 v17, s3, v0
	v_mov_b32_e32 v24, v0
	s_lshl_b32 s3, s3, 2
	s_waitcnt lgkmcnt(0)
	v_add_co_u32 v20, vcc_lo, s14, v9
	v_add_co_ci_u32_e64 v21, null, s15, v10, vcc_lo
	v_add_co_u32 v22, vcc_lo, s4, v22
	v_mov_b32_e32 v9, v11
	v_add_co_ci_u32_e64 v23, null, s5, v23, vcc_lo
	v_mov_b32_e32 v10, v12
	s_lshl_b32 s5, s6, 2
	s_mov_b32 s4, 0
	s_inst_prefetch 0x1
	.p2align	6
.LBB22_22:                              ; =>This Inner Loop Header: Depth=1
	v_ashrrev_i32_e32 v18, 31, v17
	v_ashrrev_i32_e32 v16, 31, v15
	v_add_nc_u32_e32 v24, 4, v24
	v_lshlrev_b64 v[25:26], 4, v[17:18]
	v_lshlrev_b64 v[27:28], 4, v[15:16]
	v_add_nc_u32_e32 v17, s3, v17
	v_add_nc_u32_e32 v15, s5, v15
	v_add_co_u32 v25, vcc_lo, v20, v25
	v_add_co_ci_u32_e64 v26, null, v21, v26, vcc_lo
	v_add_co_u32 v29, vcc_lo, v22, v27
	v_add_co_ci_u32_e64 v30, null, v23, v28, vcc_lo
	global_load_dwordx4 v[25:28], v[25:26], off
	global_load_dwordx4 v[29:32], v[29:30], off
	v_cmp_le_i32_e32 vcc_lo, s10, v24
	s_or_b32 s4, vcc_lo, s4
	s_waitcnt vmcnt(0)
	v_mul_f64 v[33:34], v[27:28], -v[31:32]
	v_mul_f64 v[27:28], v[27:28], v[29:30]
	v_fma_f64 v[29:30], v[29:30], v[25:26], v[33:34]
	v_fma_f64 v[25:26], v[31:32], v[25:26], v[27:28]
	v_add_f64 v[9:10], v[9:10], v[29:30]
	v_add_f64 v[11:12], v[11:12], v[25:26]
	s_andn2_b32 exec_lo, exec_lo, s4
	s_cbranch_execnz .LBB22_22
; %bb.23:
	s_inst_prefetch 0x2
	s_or_b32 exec_lo, exec_lo, s4
.LBB22_24:
	s_or_b32 exec_lo, exec_lo, s2
	v_lshlrev_b32_e32 v15, 6, v19
	s_mov_b32 s2, exec_lo
	v_lshl_or_b32 v16, v0, 4, v15
	ds_write_b128 v16, v[9:12]
	s_waitcnt lgkmcnt(0)
	s_barrier
	buffer_gl0_inv
	v_cmpx_gt_u32_e32 2, v0
	s_cbranch_execz .LBB22_26
; %bb.25:
	ds_read_b128 v[9:12], v16
	ds_read_b128 v[17:20], v16 offset:32
	s_waitcnt lgkmcnt(0)
	v_add_f64 v[9:10], v[17:18], v[9:10]
	v_add_f64 v[11:12], v[19:20], v[11:12]
	ds_write_b128 v16, v[9:12]
.LBB22_26:
	s_or_b32 exec_lo, exec_lo, s2
	v_cmp_eq_u32_e32 vcc_lo, 0, v0
	s_waitcnt lgkmcnt(0)
	s_barrier
	buffer_gl0_inv
	s_and_saveexec_b32 s2, vcc_lo
	s_cbranch_execz .LBB22_28
; %bb.27:
	ds_read_b128 v[9:12], v16
	ds_read_b128 v[17:20], v16 offset:16
	s_waitcnt lgkmcnt(0)
	v_add_f64 v[9:10], v[17:18], v[9:10]
	v_add_f64 v[11:12], v[19:20], v[11:12]
	ds_write_b128 v16, v[9:12]
.LBB22_28:
	s_or_b32 exec_lo, exec_lo, s2
	s_waitcnt lgkmcnt(0)
	s_barrier
	buffer_gl0_inv
	s_and_b32 exec_lo, exec_lo, vcc_lo
	s_cbranch_execz .LBB22_30
; %bb.29:
	v_lshlrev_b64 v[9:10], 4, v[13:14]
	ds_read_b128 v[13:16], v15
	v_add_co_u32 v17, vcc_lo, s0, v9
	v_add_co_ci_u32_e64 v18, null, s1, v10, vcc_lo
	global_load_dwordx4 v[9:12], v[17:18], off
	s_waitcnt lgkmcnt(0)
	v_mul_f64 v[19:20], v[15:16], -v[3:4]
	v_mul_f64 v[15:16], v[1:2], v[15:16]
	v_fma_f64 v[0:1], v[1:2], v[13:14], v[19:20]
	v_fma_f64 v[2:3], v[3:4], v[13:14], v[15:16]
	s_waitcnt vmcnt(0)
	v_mul_f64 v[21:22], v[7:8], -v[11:12]
	v_mul_f64 v[7:8], v[7:8], v[9:10]
	v_fma_f64 v[9:10], v[9:10], v[5:6], v[21:22]
	v_fma_f64 v[4:5], v[11:12], v[5:6], v[7:8]
	v_add_f64 v[0:1], v[9:10], v[0:1]
	v_add_f64 v[2:3], v[4:5], v[2:3]
	global_store_dwordx4 v[17:18], v[0:3], off
.LBB22_30:
	s_endpgm
	.section	.rodata,"a",@progbits
	.p2align	6, 0x0
	.amdhsa_kernel _ZN9rocsparseL17sddmm_coox_kernelILi512ELi4ELb0E21rocsparse_complex_numIdEiiS2_S2_S2_EEv20rocsparse_operation_S3_16rocsparse_order_S4_T4_S5_S5_T3_NS_24const_host_device_scalarIT2_EEPKT5_lPKT6_lS9_PT7_PKS6_SJ_21rocsparse_index_base_b
		.amdhsa_group_segment_fixed_size 8192
		.amdhsa_private_segment_fixed_size 0
		.amdhsa_kernarg_size 128
		.amdhsa_user_sgpr_count 6
		.amdhsa_user_sgpr_private_segment_buffer 1
		.amdhsa_user_sgpr_dispatch_ptr 0
		.amdhsa_user_sgpr_queue_ptr 0
		.amdhsa_user_sgpr_kernarg_segment_ptr 1
		.amdhsa_user_sgpr_dispatch_id 0
		.amdhsa_user_sgpr_flat_scratch_init 0
		.amdhsa_user_sgpr_private_segment_size 0
		.amdhsa_wavefront_size32 1
		.amdhsa_uses_dynamic_stack 0
		.amdhsa_system_sgpr_private_segment_wavefront_offset 0
		.amdhsa_system_sgpr_workgroup_id_x 1
		.amdhsa_system_sgpr_workgroup_id_y 0
		.amdhsa_system_sgpr_workgroup_id_z 0
		.amdhsa_system_sgpr_workgroup_info 0
		.amdhsa_system_vgpr_workitem_id 0
		.amdhsa_next_free_vgpr 35
		.amdhsa_next_free_sgpr 16
		.amdhsa_reserve_vcc 1
		.amdhsa_reserve_flat_scratch 0
		.amdhsa_float_round_mode_32 0
		.amdhsa_float_round_mode_16_64 0
		.amdhsa_float_denorm_mode_32 3
		.amdhsa_float_denorm_mode_16_64 3
		.amdhsa_dx10_clamp 1
		.amdhsa_ieee_mode 1
		.amdhsa_fp16_overflow 0
		.amdhsa_workgroup_processor_mode 1
		.amdhsa_memory_ordered 1
		.amdhsa_forward_progress 1
		.amdhsa_shared_vgpr_count 0
		.amdhsa_exception_fp_ieee_invalid_op 0
		.amdhsa_exception_fp_denorm_src 0
		.amdhsa_exception_fp_ieee_div_zero 0
		.amdhsa_exception_fp_ieee_overflow 0
		.amdhsa_exception_fp_ieee_underflow 0
		.amdhsa_exception_fp_ieee_inexact 0
		.amdhsa_exception_int_div_zero 0
	.end_amdhsa_kernel
	.section	.text._ZN9rocsparseL17sddmm_coox_kernelILi512ELi4ELb0E21rocsparse_complex_numIdEiiS2_S2_S2_EEv20rocsparse_operation_S3_16rocsparse_order_S4_T4_S5_S5_T3_NS_24const_host_device_scalarIT2_EEPKT5_lPKT6_lS9_PT7_PKS6_SJ_21rocsparse_index_base_b,"axG",@progbits,_ZN9rocsparseL17sddmm_coox_kernelILi512ELi4ELb0E21rocsparse_complex_numIdEiiS2_S2_S2_EEv20rocsparse_operation_S3_16rocsparse_order_S4_T4_S5_S5_T3_NS_24const_host_device_scalarIT2_EEPKT5_lPKT6_lS9_PT7_PKS6_SJ_21rocsparse_index_base_b,comdat
.Lfunc_end22:
	.size	_ZN9rocsparseL17sddmm_coox_kernelILi512ELi4ELb0E21rocsparse_complex_numIdEiiS2_S2_S2_EEv20rocsparse_operation_S3_16rocsparse_order_S4_T4_S5_S5_T3_NS_24const_host_device_scalarIT2_EEPKT5_lPKT6_lS9_PT7_PKS6_SJ_21rocsparse_index_base_b, .Lfunc_end22-_ZN9rocsparseL17sddmm_coox_kernelILi512ELi4ELb0E21rocsparse_complex_numIdEiiS2_S2_S2_EEv20rocsparse_operation_S3_16rocsparse_order_S4_T4_S5_S5_T3_NS_24const_host_device_scalarIT2_EEPKT5_lPKT6_lS9_PT7_PKS6_SJ_21rocsparse_index_base_b
                                        ; -- End function
	.set _ZN9rocsparseL17sddmm_coox_kernelILi512ELi4ELb0E21rocsparse_complex_numIdEiiS2_S2_S2_EEv20rocsparse_operation_S3_16rocsparse_order_S4_T4_S5_S5_T3_NS_24const_host_device_scalarIT2_EEPKT5_lPKT6_lS9_PT7_PKS6_SJ_21rocsparse_index_base_b.num_vgpr, 35
	.set _ZN9rocsparseL17sddmm_coox_kernelILi512ELi4ELb0E21rocsparse_complex_numIdEiiS2_S2_S2_EEv20rocsparse_operation_S3_16rocsparse_order_S4_T4_S5_S5_T3_NS_24const_host_device_scalarIT2_EEPKT5_lPKT6_lS9_PT7_PKS6_SJ_21rocsparse_index_base_b.num_agpr, 0
	.set _ZN9rocsparseL17sddmm_coox_kernelILi512ELi4ELb0E21rocsparse_complex_numIdEiiS2_S2_S2_EEv20rocsparse_operation_S3_16rocsparse_order_S4_T4_S5_S5_T3_NS_24const_host_device_scalarIT2_EEPKT5_lPKT6_lS9_PT7_PKS6_SJ_21rocsparse_index_base_b.numbered_sgpr, 16
	.set _ZN9rocsparseL17sddmm_coox_kernelILi512ELi4ELb0E21rocsparse_complex_numIdEiiS2_S2_S2_EEv20rocsparse_operation_S3_16rocsparse_order_S4_T4_S5_S5_T3_NS_24const_host_device_scalarIT2_EEPKT5_lPKT6_lS9_PT7_PKS6_SJ_21rocsparse_index_base_b.num_named_barrier, 0
	.set _ZN9rocsparseL17sddmm_coox_kernelILi512ELi4ELb0E21rocsparse_complex_numIdEiiS2_S2_S2_EEv20rocsparse_operation_S3_16rocsparse_order_S4_T4_S5_S5_T3_NS_24const_host_device_scalarIT2_EEPKT5_lPKT6_lS9_PT7_PKS6_SJ_21rocsparse_index_base_b.private_seg_size, 0
	.set _ZN9rocsparseL17sddmm_coox_kernelILi512ELi4ELb0E21rocsparse_complex_numIdEiiS2_S2_S2_EEv20rocsparse_operation_S3_16rocsparse_order_S4_T4_S5_S5_T3_NS_24const_host_device_scalarIT2_EEPKT5_lPKT6_lS9_PT7_PKS6_SJ_21rocsparse_index_base_b.uses_vcc, 1
	.set _ZN9rocsparseL17sddmm_coox_kernelILi512ELi4ELb0E21rocsparse_complex_numIdEiiS2_S2_S2_EEv20rocsparse_operation_S3_16rocsparse_order_S4_T4_S5_S5_T3_NS_24const_host_device_scalarIT2_EEPKT5_lPKT6_lS9_PT7_PKS6_SJ_21rocsparse_index_base_b.uses_flat_scratch, 0
	.set _ZN9rocsparseL17sddmm_coox_kernelILi512ELi4ELb0E21rocsparse_complex_numIdEiiS2_S2_S2_EEv20rocsparse_operation_S3_16rocsparse_order_S4_T4_S5_S5_T3_NS_24const_host_device_scalarIT2_EEPKT5_lPKT6_lS9_PT7_PKS6_SJ_21rocsparse_index_base_b.has_dyn_sized_stack, 0
	.set _ZN9rocsparseL17sddmm_coox_kernelILi512ELi4ELb0E21rocsparse_complex_numIdEiiS2_S2_S2_EEv20rocsparse_operation_S3_16rocsparse_order_S4_T4_S5_S5_T3_NS_24const_host_device_scalarIT2_EEPKT5_lPKT6_lS9_PT7_PKS6_SJ_21rocsparse_index_base_b.has_recursion, 0
	.set _ZN9rocsparseL17sddmm_coox_kernelILi512ELi4ELb0E21rocsparse_complex_numIdEiiS2_S2_S2_EEv20rocsparse_operation_S3_16rocsparse_order_S4_T4_S5_S5_T3_NS_24const_host_device_scalarIT2_EEPKT5_lPKT6_lS9_PT7_PKS6_SJ_21rocsparse_index_base_b.has_indirect_call, 0
	.section	.AMDGPU.csdata,"",@progbits
; Kernel info:
; codeLenInByte = 1332
; TotalNumSgprs: 18
; NumVgprs: 35
; ScratchSize: 0
; MemoryBound: 0
; FloatMode: 240
; IeeeMode: 1
; LDSByteSize: 8192 bytes/workgroup (compile time only)
; SGPRBlocks: 0
; VGPRBlocks: 4
; NumSGPRsForWavesPerEU: 18
; NumVGPRsForWavesPerEU: 35
; Occupancy: 16
; WaveLimiterHint : 0
; COMPUTE_PGM_RSRC2:SCRATCH_EN: 0
; COMPUTE_PGM_RSRC2:USER_SGPR: 6
; COMPUTE_PGM_RSRC2:TRAP_HANDLER: 0
; COMPUTE_PGM_RSRC2:TGID_X_EN: 1
; COMPUTE_PGM_RSRC2:TGID_Y_EN: 0
; COMPUTE_PGM_RSRC2:TGID_Z_EN: 0
; COMPUTE_PGM_RSRC2:TIDIG_COMP_CNT: 0
	.section	.text._ZN9rocsparseL17sddmm_coox_kernelILi512ELi2ELb0E21rocsparse_complex_numIdEiiS2_S2_S2_EEv20rocsparse_operation_S3_16rocsparse_order_S4_T4_S5_S5_T3_NS_24const_host_device_scalarIT2_EEPKT5_lPKT6_lS9_PT7_PKS6_SJ_21rocsparse_index_base_b,"axG",@progbits,_ZN9rocsparseL17sddmm_coox_kernelILi512ELi2ELb0E21rocsparse_complex_numIdEiiS2_S2_S2_EEv20rocsparse_operation_S3_16rocsparse_order_S4_T4_S5_S5_T3_NS_24const_host_device_scalarIT2_EEPKT5_lPKT6_lS9_PT7_PKS6_SJ_21rocsparse_index_base_b,comdat
	.globl	_ZN9rocsparseL17sddmm_coox_kernelILi512ELi2ELb0E21rocsparse_complex_numIdEiiS2_S2_S2_EEv20rocsparse_operation_S3_16rocsparse_order_S4_T4_S5_S5_T3_NS_24const_host_device_scalarIT2_EEPKT5_lPKT6_lS9_PT7_PKS6_SJ_21rocsparse_index_base_b ; -- Begin function _ZN9rocsparseL17sddmm_coox_kernelILi512ELi2ELb0E21rocsparse_complex_numIdEiiS2_S2_S2_EEv20rocsparse_operation_S3_16rocsparse_order_S4_T4_S5_S5_T3_NS_24const_host_device_scalarIT2_EEPKT5_lPKT6_lS9_PT7_PKS6_SJ_21rocsparse_index_base_b
	.p2align	8
	.type	_ZN9rocsparseL17sddmm_coox_kernelILi512ELi2ELb0E21rocsparse_complex_numIdEiiS2_S2_S2_EEv20rocsparse_operation_S3_16rocsparse_order_S4_T4_S5_S5_T3_NS_24const_host_device_scalarIT2_EEPKT5_lPKT6_lS9_PT7_PKS6_SJ_21rocsparse_index_base_b,@function
_ZN9rocsparseL17sddmm_coox_kernelILi512ELi2ELb0E21rocsparse_complex_numIdEiiS2_S2_S2_EEv20rocsparse_operation_S3_16rocsparse_order_S4_T4_S5_S5_T3_NS_24const_host_device_scalarIT2_EEPKT5_lPKT6_lS9_PT7_PKS6_SJ_21rocsparse_index_base_b: ; @_ZN9rocsparseL17sddmm_coox_kernelILi512ELi2ELb0E21rocsparse_complex_numIdEiiS2_S2_S2_EEv20rocsparse_operation_S3_16rocsparse_order_S4_T4_S5_S5_T3_NS_24const_host_device_scalarIT2_EEPKT5_lPKT6_lS9_PT7_PKS6_SJ_21rocsparse_index_base_b
; %bb.0:
	s_clause 0x1
	s_load_dwordx2 s[12:13], s[4:5], 0x78
	s_load_dwordx2 s[0:1], s[4:5], 0x20
	s_add_u32 s2, s4, 32
	s_addc_u32 s3, s5, 0
	s_add_u32 s7, s4, 0x50
	s_addc_u32 s14, s5, 0
	s_load_dwordx4 s[8:11], s[4:5], 0x48
	s_waitcnt lgkmcnt(0)
	s_bitcmp1_b32 s13, 0
	s_cselect_b32 s0, s2, s0
	s_cselect_b32 s1, s3, s1
	v_mov_b32_e32 v1, s0
	v_mov_b32_e32 v2, s1
	s_cselect_b32 s0, s7, s10
	s_cselect_b32 s1, s14, s11
	v_mov_b32_e32 v5, s0
	v_mov_b32_e32 v6, s1
	flat_load_dwordx4 v[1:4], v[1:2]
	flat_load_dwordx4 v[5:8], v[5:6]
	s_waitcnt vmcnt(1) lgkmcnt(1)
	v_cmp_eq_f64_e32 vcc_lo, 0, v[1:2]
	v_cmp_eq_f64_e64 s0, 0, v[3:4]
	s_and_b32 s2, vcc_lo, s0
	s_mov_b32 s0, -1
	s_and_saveexec_b32 s1, s2
	s_cbranch_execz .LBB23_2
; %bb.1:
	s_waitcnt vmcnt(0) lgkmcnt(0)
	v_cmp_neq_f64_e32 vcc_lo, 1.0, v[5:6]
	v_cmp_neq_f64_e64 s0, 0, v[7:8]
	s_or_b32 s0, vcc_lo, s0
	s_orn2_b32 s0, s0, exec_lo
.LBB23_2:
	s_or_b32 exec_lo, exec_lo, s1
	s_and_saveexec_b32 s1, s0
	s_cbranch_execz .LBB23_28
; %bb.3:
	s_load_dwordx2 s[10:11], s[4:5], 0x18
	v_lshrrev_b32_e32 v19, 1, v0
	v_lshl_or_b32 v13, s6, 8, v19
	s_waitcnt lgkmcnt(0)
	v_cmp_gt_i32_e32 vcc_lo, s11, v13
	s_and_b32 exec_lo, exec_lo, vcc_lo
	s_cbranch_execz .LBB23_28
; %bb.4:
	s_load_dwordx4 s[0:3], s[4:5], 0x68
	v_ashrrev_i32_e32 v14, 31, v13
	v_lshlrev_b64 v[9:10], 2, v[13:14]
	s_waitcnt lgkmcnt(0)
	v_add_co_u32 v11, vcc_lo, s0, v9
	v_add_co_ci_u32_e64 v12, null, s1, v10, vcc_lo
	v_add_co_u32 v9, vcc_lo, s2, v9
	v_add_co_ci_u32_e64 v10, null, s3, v10, vcc_lo
	global_load_dword v12, v[11:12], off
	global_load_dword v11, v[9:10], off
	s_clause 0x1
	s_load_dwordx4 s[0:3], s[4:5], 0x0
	s_load_dwordx2 s[6:7], s[4:5], 0x38
	s_waitcnt lgkmcnt(0)
	s_cmp_eq_u32 s2, 1
	s_cselect_b32 s11, -1, 0
	s_cmpk_eq_i32 s0, 0x6f
	s_cselect_b32 s13, -1, 0
	s_cmpk_lg_i32 s0, 0x6f
	s_cselect_b32 s0, -1, 0
	s_cmp_lg_u32 s2, 1
	s_waitcnt vmcnt(1)
	v_subrev_nc_u32_e32 v9, s12, v12
	v_ashrrev_i32_e32 v10, 31, v9
	s_cbranch_scc0 .LBB23_8
; %bb.5:
	v_mov_b32_e32 v16, v10
	v_mov_b32_e32 v15, v9
	s_andn2_b32 vcc_lo, exec_lo, s13
	s_cbranch_vccnz .LBB23_7
; %bb.6:
	v_mul_lo_u32 v12, s7, v9
	v_mul_lo_u32 v17, s6, v10
	v_mad_u64_u32 v[15:16], null, s6, v9, 0
	v_add3_u32 v16, v16, v17, v12
.LBB23_7:
	s_cbranch_execz .LBB23_9
	s_branch .LBB23_12
.LBB23_8:
                                        ; implicit-def: $vgpr15_vgpr16
.LBB23_9:
	s_andn2_b32 vcc_lo, exec_lo, s0
	s_cbranch_vccnz .LBB23_11
; %bb.10:
	v_mul_lo_u32 v12, s7, v9
	v_mul_lo_u32 v15, s6, v10
	v_mad_u64_u32 v[9:10], null, s6, v9, 0
	v_add3_u32 v10, v10, v15, v12
.LBB23_11:
	v_mov_b32_e32 v16, v10
	v_mov_b32_e32 v15, v9
.LBB23_12:
	s_waitcnt vmcnt(0)
	v_subrev_nc_u32_e32 v9, s12, v11
	s_cmp_eq_u32 s3, 1
	s_cselect_b32 s7, -1, 0
	s_cmpk_eq_i32 s1, 0x6f
	v_ashrrev_i32_e32 v10, 31, v9
	s_cselect_b32 s12, -1, 0
	s_cmpk_lg_i32 s1, 0x6f
	s_cselect_b32 s0, -1, 0
	s_cmp_lg_u32 s3, 1
	s_cbranch_scc0 .LBB23_16
; %bb.13:
	v_mov_b32_e32 v18, v10
	v_mov_b32_e32 v17, v9
	s_andn2_b32 vcc_lo, exec_lo, s0
	s_cbranch_vccnz .LBB23_15
; %bb.14:
	v_mul_lo_u32 v11, s9, v9
	v_mul_lo_u32 v12, s8, v10
	v_mad_u64_u32 v[17:18], null, s8, v9, 0
	v_add3_u32 v18, v18, v12, v11
.LBB23_15:
	s_cbranch_execz .LBB23_17
	s_branch .LBB23_20
.LBB23_16:
                                        ; implicit-def: $vgpr17_vgpr18
.LBB23_17:
	s_andn2_b32 vcc_lo, exec_lo, s12
	s_cbranch_vccnz .LBB23_19
; %bb.18:
	v_mul_lo_u32 v11, s9, v9
	v_mul_lo_u32 v12, s8, v10
	v_mad_u64_u32 v[9:10], null, s8, v9, 0
	v_add3_u32 v10, v10, v12, v11
.LBB23_19:
	v_mov_b32_e32 v18, v10
	v_mov_b32_e32 v17, v9
.LBB23_20:
	s_load_dwordx2 s[0:1], s[4:5], 0x60
	v_mov_b32_e32 v11, 0
	v_mov_b32_e32 v9, 0
	v_and_b32_e32 v0, 1, v0
	v_mov_b32_e32 v12, 0
	v_mov_b32_e32 v10, 0
	s_mov_b32 s2, exec_lo
	v_cmpx_gt_i32_e64 s10, v0
	s_cbranch_execz .LBB23_24
; %bb.21:
	s_clause 0x1
	s_load_dwordx2 s[14:15], s[4:5], 0x40
	s_load_dwordx2 s[4:5], s[4:5], 0x30
	s_xor_b32 s3, s13, s11
	v_lshlrev_b64 v[9:10], 4, v[17:18]
	s_and_b32 s3, s3, exec_lo
	v_lshlrev_b64 v[22:23], 4, v[15:16]
	s_cselect_b32 s6, 1, s6
	s_xor_b32 s3, s12, s7
	v_mov_b32_e32 v11, 0
	s_and_b32 s3, s3, exec_lo
	v_mov_b32_e32 v12, 0
	s_cselect_b32 s3, s8, 1
	v_mul_lo_u32 v15, s6, v0
	v_mul_lo_u32 v17, s3, v0
	v_mov_b32_e32 v24, v0
	s_lshl_b32 s3, s3, 1
	s_waitcnt lgkmcnt(0)
	v_add_co_u32 v20, vcc_lo, s14, v9
	v_add_co_ci_u32_e64 v21, null, s15, v10, vcc_lo
	v_add_co_u32 v22, vcc_lo, s4, v22
	v_mov_b32_e32 v9, v11
	v_add_co_ci_u32_e64 v23, null, s5, v23, vcc_lo
	v_mov_b32_e32 v10, v12
	s_lshl_b32 s5, s6, 1
	s_mov_b32 s4, 0
	s_inst_prefetch 0x1
	.p2align	6
.LBB23_22:                              ; =>This Inner Loop Header: Depth=1
	v_ashrrev_i32_e32 v18, 31, v17
	v_ashrrev_i32_e32 v16, 31, v15
	v_add_nc_u32_e32 v24, 2, v24
	v_lshlrev_b64 v[25:26], 4, v[17:18]
	v_lshlrev_b64 v[27:28], 4, v[15:16]
	v_add_nc_u32_e32 v17, s3, v17
	v_add_nc_u32_e32 v15, s5, v15
	v_add_co_u32 v25, vcc_lo, v20, v25
	v_add_co_ci_u32_e64 v26, null, v21, v26, vcc_lo
	v_add_co_u32 v29, vcc_lo, v22, v27
	v_add_co_ci_u32_e64 v30, null, v23, v28, vcc_lo
	global_load_dwordx4 v[25:28], v[25:26], off
	global_load_dwordx4 v[29:32], v[29:30], off
	v_cmp_le_i32_e32 vcc_lo, s10, v24
	s_or_b32 s4, vcc_lo, s4
	s_waitcnt vmcnt(0)
	v_mul_f64 v[33:34], v[27:28], -v[31:32]
	v_mul_f64 v[27:28], v[27:28], v[29:30]
	v_fma_f64 v[29:30], v[29:30], v[25:26], v[33:34]
	v_fma_f64 v[25:26], v[31:32], v[25:26], v[27:28]
	v_add_f64 v[9:10], v[9:10], v[29:30]
	v_add_f64 v[11:12], v[11:12], v[25:26]
	s_andn2_b32 exec_lo, exec_lo, s4
	s_cbranch_execnz .LBB23_22
; %bb.23:
	s_inst_prefetch 0x2
	s_or_b32 exec_lo, exec_lo, s4
.LBB23_24:
	s_or_b32 exec_lo, exec_lo, s2
	v_lshlrev_b32_e32 v15, 5, v19
	v_cmp_eq_u32_e32 vcc_lo, 0, v0
	v_lshl_or_b32 v16, v0, 4, v15
	ds_write_b128 v16, v[9:12]
	s_waitcnt lgkmcnt(0)
	s_barrier
	buffer_gl0_inv
	s_and_saveexec_b32 s2, vcc_lo
	s_cbranch_execz .LBB23_26
; %bb.25:
	ds_read_b128 v[9:12], v15 offset:16
	ds_read_b128 v[17:20], v16
	s_waitcnt lgkmcnt(0)
	v_add_f64 v[9:10], v[9:10], v[17:18]
	v_add_f64 v[11:12], v[11:12], v[19:20]
	ds_write_b128 v16, v[9:12]
.LBB23_26:
	s_or_b32 exec_lo, exec_lo, s2
	s_waitcnt lgkmcnt(0)
	s_barrier
	buffer_gl0_inv
	s_and_b32 exec_lo, exec_lo, vcc_lo
	s_cbranch_execz .LBB23_28
; %bb.27:
	v_lshlrev_b64 v[9:10], 4, v[13:14]
	ds_read_b128 v[13:16], v15
	v_add_co_u32 v17, vcc_lo, s0, v9
	v_add_co_ci_u32_e64 v18, null, s1, v10, vcc_lo
	global_load_dwordx4 v[9:12], v[17:18], off
	s_waitcnt lgkmcnt(0)
	v_mul_f64 v[19:20], v[15:16], -v[3:4]
	v_mul_f64 v[15:16], v[1:2], v[15:16]
	v_fma_f64 v[0:1], v[1:2], v[13:14], v[19:20]
	v_fma_f64 v[2:3], v[3:4], v[13:14], v[15:16]
	s_waitcnt vmcnt(0)
	v_mul_f64 v[21:22], v[7:8], -v[11:12]
	v_mul_f64 v[7:8], v[7:8], v[9:10]
	v_fma_f64 v[9:10], v[9:10], v[5:6], v[21:22]
	v_fma_f64 v[4:5], v[11:12], v[5:6], v[7:8]
	v_add_f64 v[0:1], v[9:10], v[0:1]
	v_add_f64 v[2:3], v[4:5], v[2:3]
	global_store_dwordx4 v[17:18], v[0:3], off
.LBB23_28:
	s_endpgm
	.section	.rodata,"a",@progbits
	.p2align	6, 0x0
	.amdhsa_kernel _ZN9rocsparseL17sddmm_coox_kernelILi512ELi2ELb0E21rocsparse_complex_numIdEiiS2_S2_S2_EEv20rocsparse_operation_S3_16rocsparse_order_S4_T4_S5_S5_T3_NS_24const_host_device_scalarIT2_EEPKT5_lPKT6_lS9_PT7_PKS6_SJ_21rocsparse_index_base_b
		.amdhsa_group_segment_fixed_size 8192
		.amdhsa_private_segment_fixed_size 0
		.amdhsa_kernarg_size 128
		.amdhsa_user_sgpr_count 6
		.amdhsa_user_sgpr_private_segment_buffer 1
		.amdhsa_user_sgpr_dispatch_ptr 0
		.amdhsa_user_sgpr_queue_ptr 0
		.amdhsa_user_sgpr_kernarg_segment_ptr 1
		.amdhsa_user_sgpr_dispatch_id 0
		.amdhsa_user_sgpr_flat_scratch_init 0
		.amdhsa_user_sgpr_private_segment_size 0
		.amdhsa_wavefront_size32 1
		.amdhsa_uses_dynamic_stack 0
		.amdhsa_system_sgpr_private_segment_wavefront_offset 0
		.amdhsa_system_sgpr_workgroup_id_x 1
		.amdhsa_system_sgpr_workgroup_id_y 0
		.amdhsa_system_sgpr_workgroup_id_z 0
		.amdhsa_system_sgpr_workgroup_info 0
		.amdhsa_system_vgpr_workitem_id 0
		.amdhsa_next_free_vgpr 35
		.amdhsa_next_free_sgpr 16
		.amdhsa_reserve_vcc 1
		.amdhsa_reserve_flat_scratch 0
		.amdhsa_float_round_mode_32 0
		.amdhsa_float_round_mode_16_64 0
		.amdhsa_float_denorm_mode_32 3
		.amdhsa_float_denorm_mode_16_64 3
		.amdhsa_dx10_clamp 1
		.amdhsa_ieee_mode 1
		.amdhsa_fp16_overflow 0
		.amdhsa_workgroup_processor_mode 1
		.amdhsa_memory_ordered 1
		.amdhsa_forward_progress 1
		.amdhsa_shared_vgpr_count 0
		.amdhsa_exception_fp_ieee_invalid_op 0
		.amdhsa_exception_fp_denorm_src 0
		.amdhsa_exception_fp_ieee_div_zero 0
		.amdhsa_exception_fp_ieee_overflow 0
		.amdhsa_exception_fp_ieee_underflow 0
		.amdhsa_exception_fp_ieee_inexact 0
		.amdhsa_exception_int_div_zero 0
	.end_amdhsa_kernel
	.section	.text._ZN9rocsparseL17sddmm_coox_kernelILi512ELi2ELb0E21rocsparse_complex_numIdEiiS2_S2_S2_EEv20rocsparse_operation_S3_16rocsparse_order_S4_T4_S5_S5_T3_NS_24const_host_device_scalarIT2_EEPKT5_lPKT6_lS9_PT7_PKS6_SJ_21rocsparse_index_base_b,"axG",@progbits,_ZN9rocsparseL17sddmm_coox_kernelILi512ELi2ELb0E21rocsparse_complex_numIdEiiS2_S2_S2_EEv20rocsparse_operation_S3_16rocsparse_order_S4_T4_S5_S5_T3_NS_24const_host_device_scalarIT2_EEPKT5_lPKT6_lS9_PT7_PKS6_SJ_21rocsparse_index_base_b,comdat
.Lfunc_end23:
	.size	_ZN9rocsparseL17sddmm_coox_kernelILi512ELi2ELb0E21rocsparse_complex_numIdEiiS2_S2_S2_EEv20rocsparse_operation_S3_16rocsparse_order_S4_T4_S5_S5_T3_NS_24const_host_device_scalarIT2_EEPKT5_lPKT6_lS9_PT7_PKS6_SJ_21rocsparse_index_base_b, .Lfunc_end23-_ZN9rocsparseL17sddmm_coox_kernelILi512ELi2ELb0E21rocsparse_complex_numIdEiiS2_S2_S2_EEv20rocsparse_operation_S3_16rocsparse_order_S4_T4_S5_S5_T3_NS_24const_host_device_scalarIT2_EEPKT5_lPKT6_lS9_PT7_PKS6_SJ_21rocsparse_index_base_b
                                        ; -- End function
	.set _ZN9rocsparseL17sddmm_coox_kernelILi512ELi2ELb0E21rocsparse_complex_numIdEiiS2_S2_S2_EEv20rocsparse_operation_S3_16rocsparse_order_S4_T4_S5_S5_T3_NS_24const_host_device_scalarIT2_EEPKT5_lPKT6_lS9_PT7_PKS6_SJ_21rocsparse_index_base_b.num_vgpr, 35
	.set _ZN9rocsparseL17sddmm_coox_kernelILi512ELi2ELb0E21rocsparse_complex_numIdEiiS2_S2_S2_EEv20rocsparse_operation_S3_16rocsparse_order_S4_T4_S5_S5_T3_NS_24const_host_device_scalarIT2_EEPKT5_lPKT6_lS9_PT7_PKS6_SJ_21rocsparse_index_base_b.num_agpr, 0
	.set _ZN9rocsparseL17sddmm_coox_kernelILi512ELi2ELb0E21rocsparse_complex_numIdEiiS2_S2_S2_EEv20rocsparse_operation_S3_16rocsparse_order_S4_T4_S5_S5_T3_NS_24const_host_device_scalarIT2_EEPKT5_lPKT6_lS9_PT7_PKS6_SJ_21rocsparse_index_base_b.numbered_sgpr, 16
	.set _ZN9rocsparseL17sddmm_coox_kernelILi512ELi2ELb0E21rocsparse_complex_numIdEiiS2_S2_S2_EEv20rocsparse_operation_S3_16rocsparse_order_S4_T4_S5_S5_T3_NS_24const_host_device_scalarIT2_EEPKT5_lPKT6_lS9_PT7_PKS6_SJ_21rocsparse_index_base_b.num_named_barrier, 0
	.set _ZN9rocsparseL17sddmm_coox_kernelILi512ELi2ELb0E21rocsparse_complex_numIdEiiS2_S2_S2_EEv20rocsparse_operation_S3_16rocsparse_order_S4_T4_S5_S5_T3_NS_24const_host_device_scalarIT2_EEPKT5_lPKT6_lS9_PT7_PKS6_SJ_21rocsparse_index_base_b.private_seg_size, 0
	.set _ZN9rocsparseL17sddmm_coox_kernelILi512ELi2ELb0E21rocsparse_complex_numIdEiiS2_S2_S2_EEv20rocsparse_operation_S3_16rocsparse_order_S4_T4_S5_S5_T3_NS_24const_host_device_scalarIT2_EEPKT5_lPKT6_lS9_PT7_PKS6_SJ_21rocsparse_index_base_b.uses_vcc, 1
	.set _ZN9rocsparseL17sddmm_coox_kernelILi512ELi2ELb0E21rocsparse_complex_numIdEiiS2_S2_S2_EEv20rocsparse_operation_S3_16rocsparse_order_S4_T4_S5_S5_T3_NS_24const_host_device_scalarIT2_EEPKT5_lPKT6_lS9_PT7_PKS6_SJ_21rocsparse_index_base_b.uses_flat_scratch, 0
	.set _ZN9rocsparseL17sddmm_coox_kernelILi512ELi2ELb0E21rocsparse_complex_numIdEiiS2_S2_S2_EEv20rocsparse_operation_S3_16rocsparse_order_S4_T4_S5_S5_T3_NS_24const_host_device_scalarIT2_EEPKT5_lPKT6_lS9_PT7_PKS6_SJ_21rocsparse_index_base_b.has_dyn_sized_stack, 0
	.set _ZN9rocsparseL17sddmm_coox_kernelILi512ELi2ELb0E21rocsparse_complex_numIdEiiS2_S2_S2_EEv20rocsparse_operation_S3_16rocsparse_order_S4_T4_S5_S5_T3_NS_24const_host_device_scalarIT2_EEPKT5_lPKT6_lS9_PT7_PKS6_SJ_21rocsparse_index_base_b.has_recursion, 0
	.set _ZN9rocsparseL17sddmm_coox_kernelILi512ELi2ELb0E21rocsparse_complex_numIdEiiS2_S2_S2_EEv20rocsparse_operation_S3_16rocsparse_order_S4_T4_S5_S5_T3_NS_24const_host_device_scalarIT2_EEPKT5_lPKT6_lS9_PT7_PKS6_SJ_21rocsparse_index_base_b.has_indirect_call, 0
	.section	.AMDGPU.csdata,"",@progbits
; Kernel info:
; codeLenInByte = 1256
; TotalNumSgprs: 18
; NumVgprs: 35
; ScratchSize: 0
; MemoryBound: 0
; FloatMode: 240
; IeeeMode: 1
; LDSByteSize: 8192 bytes/workgroup (compile time only)
; SGPRBlocks: 0
; VGPRBlocks: 4
; NumSGPRsForWavesPerEU: 18
; NumVGPRsForWavesPerEU: 35
; Occupancy: 16
; WaveLimiterHint : 0
; COMPUTE_PGM_RSRC2:SCRATCH_EN: 0
; COMPUTE_PGM_RSRC2:USER_SGPR: 6
; COMPUTE_PGM_RSRC2:TRAP_HANDLER: 0
; COMPUTE_PGM_RSRC2:TGID_X_EN: 1
; COMPUTE_PGM_RSRC2:TGID_Y_EN: 0
; COMPUTE_PGM_RSRC2:TGID_Z_EN: 0
; COMPUTE_PGM_RSRC2:TIDIG_COMP_CNT: 0
	.section	.text._ZN9rocsparseL17sddmm_coox_kernelILi512ELi1ELb0E21rocsparse_complex_numIdEiiS2_S2_S2_EEv20rocsparse_operation_S3_16rocsparse_order_S4_T4_S5_S5_T3_NS_24const_host_device_scalarIT2_EEPKT5_lPKT6_lS9_PT7_PKS6_SJ_21rocsparse_index_base_b,"axG",@progbits,_ZN9rocsparseL17sddmm_coox_kernelILi512ELi1ELb0E21rocsparse_complex_numIdEiiS2_S2_S2_EEv20rocsparse_operation_S3_16rocsparse_order_S4_T4_S5_S5_T3_NS_24const_host_device_scalarIT2_EEPKT5_lPKT6_lS9_PT7_PKS6_SJ_21rocsparse_index_base_b,comdat
	.globl	_ZN9rocsparseL17sddmm_coox_kernelILi512ELi1ELb0E21rocsparse_complex_numIdEiiS2_S2_S2_EEv20rocsparse_operation_S3_16rocsparse_order_S4_T4_S5_S5_T3_NS_24const_host_device_scalarIT2_EEPKT5_lPKT6_lS9_PT7_PKS6_SJ_21rocsparse_index_base_b ; -- Begin function _ZN9rocsparseL17sddmm_coox_kernelILi512ELi1ELb0E21rocsparse_complex_numIdEiiS2_S2_S2_EEv20rocsparse_operation_S3_16rocsparse_order_S4_T4_S5_S5_T3_NS_24const_host_device_scalarIT2_EEPKT5_lPKT6_lS9_PT7_PKS6_SJ_21rocsparse_index_base_b
	.p2align	8
	.type	_ZN9rocsparseL17sddmm_coox_kernelILi512ELi1ELb0E21rocsparse_complex_numIdEiiS2_S2_S2_EEv20rocsparse_operation_S3_16rocsparse_order_S4_T4_S5_S5_T3_NS_24const_host_device_scalarIT2_EEPKT5_lPKT6_lS9_PT7_PKS6_SJ_21rocsparse_index_base_b,@function
_ZN9rocsparseL17sddmm_coox_kernelILi512ELi1ELb0E21rocsparse_complex_numIdEiiS2_S2_S2_EEv20rocsparse_operation_S3_16rocsparse_order_S4_T4_S5_S5_T3_NS_24const_host_device_scalarIT2_EEPKT5_lPKT6_lS9_PT7_PKS6_SJ_21rocsparse_index_base_b: ; @_ZN9rocsparseL17sddmm_coox_kernelILi512ELi1ELb0E21rocsparse_complex_numIdEiiS2_S2_S2_EEv20rocsparse_operation_S3_16rocsparse_order_S4_T4_S5_S5_T3_NS_24const_host_device_scalarIT2_EEPKT5_lPKT6_lS9_PT7_PKS6_SJ_21rocsparse_index_base_b
; %bb.0:
	s_clause 0x1
	s_load_dwordx2 s[12:13], s[4:5], 0x78
	s_load_dwordx2 s[0:1], s[4:5], 0x20
	s_add_u32 s2, s4, 32
	s_addc_u32 s3, s5, 0
	s_add_u32 s7, s4, 0x50
	s_addc_u32 s14, s5, 0
	s_load_dwordx4 s[8:11], s[4:5], 0x48
	s_waitcnt lgkmcnt(0)
	s_bitcmp1_b32 s13, 0
	s_cselect_b32 s0, s2, s0
	s_cselect_b32 s1, s3, s1
	v_mov_b32_e32 v1, s0
	v_mov_b32_e32 v2, s1
	s_cselect_b32 s0, s7, s10
	s_cselect_b32 s1, s14, s11
	v_mov_b32_e32 v5, s0
	v_mov_b32_e32 v6, s1
	flat_load_dwordx4 v[1:4], v[1:2]
	flat_load_dwordx4 v[5:8], v[5:6]
	s_waitcnt vmcnt(1) lgkmcnt(1)
	v_cmp_eq_f64_e32 vcc_lo, 0, v[1:2]
	v_cmp_eq_f64_e64 s0, 0, v[3:4]
	s_and_b32 s2, vcc_lo, s0
	s_mov_b32 s0, -1
	s_and_saveexec_b32 s1, s2
	s_cbranch_execz .LBB24_2
; %bb.1:
	s_waitcnt vmcnt(0) lgkmcnt(0)
	v_cmp_neq_f64_e32 vcc_lo, 1.0, v[5:6]
	v_cmp_neq_f64_e64 s0, 0, v[7:8]
	s_or_b32 s0, vcc_lo, s0
	s_orn2_b32 s0, s0, exec_lo
.LBB24_2:
	s_or_b32 exec_lo, exec_lo, s1
	s_and_saveexec_b32 s1, s0
	s_cbranch_execz .LBB24_25
; %bb.3:
	s_load_dwordx2 s[10:11], s[4:5], 0x18
	v_lshl_or_b32 v13, s6, 9, v0
	s_waitcnt lgkmcnt(0)
	v_cmp_gt_i32_e32 vcc_lo, s11, v13
	s_and_b32 exec_lo, exec_lo, vcc_lo
	s_cbranch_execz .LBB24_25
; %bb.4:
	s_load_dwordx4 s[0:3], s[4:5], 0x68
	v_ashrrev_i32_e32 v14, 31, v13
	v_lshlrev_b64 v[9:10], 2, v[13:14]
	s_waitcnt lgkmcnt(0)
	v_add_co_u32 v11, vcc_lo, s0, v9
	v_add_co_ci_u32_e64 v12, null, s1, v10, vcc_lo
	v_add_co_u32 v9, vcc_lo, s2, v9
	v_add_co_ci_u32_e64 v10, null, s3, v10, vcc_lo
	global_load_dword v11, v[11:12], off
	global_load_dword v15, v[9:10], off
	s_clause 0x1
	s_load_dwordx4 s[0:3], s[4:5], 0x0
	s_load_dwordx2 s[6:7], s[4:5], 0x38
	s_waitcnt lgkmcnt(0)
	s_cmp_eq_u32 s2, 1
	s_cselect_b32 s11, -1, 0
	s_cmpk_eq_i32 s0, 0x6f
	s_cselect_b32 s13, -1, 0
	s_cmpk_lg_i32 s0, 0x6f
	s_cselect_b32 s0, -1, 0
	s_cmp_lg_u32 s2, 1
	s_waitcnt vmcnt(1)
	v_subrev_nc_u32_e32 v11, s12, v11
	v_ashrrev_i32_e32 v12, 31, v11
	s_cbranch_scc0 .LBB24_8
; %bb.5:
	v_mov_b32_e32 v9, v11
	v_mov_b32_e32 v10, v12
	s_andn2_b32 vcc_lo, exec_lo, s13
	s_cbranch_vccnz .LBB24_7
; %bb.6:
	v_mul_lo_u32 v16, s7, v11
	v_mul_lo_u32 v17, s6, v12
	v_mad_u64_u32 v[9:10], null, s6, v11, 0
	v_add3_u32 v10, v10, v17, v16
.LBB24_7:
	s_cbranch_execz .LBB24_9
	s_branch .LBB24_12
.LBB24_8:
                                        ; implicit-def: $vgpr9_vgpr10
.LBB24_9:
	s_andn2_b32 vcc_lo, exec_lo, s0
	s_cbranch_vccnz .LBB24_11
; %bb.10:
	v_mul_lo_u32 v9, s7, v11
	v_mul_lo_u32 v10, s6, v12
	v_mad_u64_u32 v[11:12], null, s6, v11, 0
	v_add3_u32 v12, v12, v10, v9
.LBB24_11:
	v_mov_b32_e32 v9, v11
	v_mov_b32_e32 v10, v12
.LBB24_12:
	s_waitcnt vmcnt(0)
	v_subrev_nc_u32_e32 v11, s12, v15
	s_cmp_eq_u32 s3, 1
	s_cselect_b32 s2, -1, 0
	s_cmpk_eq_i32 s1, 0x6f
	v_ashrrev_i32_e32 v12, 31, v11
	s_cselect_b32 s7, -1, 0
	s_cmpk_lg_i32 s1, 0x6f
	s_cselect_b32 s0, -1, 0
	s_cmp_lg_u32 s3, 1
	s_cbranch_scc0 .LBB24_19
; %bb.13:
	v_mov_b32_e32 v16, v12
	v_mov_b32_e32 v15, v11
	s_andn2_b32 vcc_lo, exec_lo, s0
	s_cbranch_vccnz .LBB24_15
; %bb.14:
	v_mul_lo_u32 v17, s9, v11
	v_mul_lo_u32 v18, s8, v12
	v_mad_u64_u32 v[15:16], null, s8, v11, 0
	v_add3_u32 v16, v16, v18, v17
.LBB24_15:
	s_cbranch_execz .LBB24_20
; %bb.16:
	s_load_dwordx2 s[0:1], s[4:5], 0x60
	s_cmp_lt_i32 s10, 1
	s_cbranch_scc1 .LBB24_23
.LBB24_17:
	s_clause 0x1
	s_load_dwordx2 s[14:15], s[4:5], 0x40
	s_load_dwordx2 s[4:5], s[4:5], 0x30
	v_lshlrev_b64 v[15:16], 4, v[15:16]
	v_lshlrev_b64 v[17:18], 4, v[9:10]
	s_xor_b32 s3, s13, s11
	v_mov_b32_e32 v11, 0
	s_and_b32 s3, s3, exec_lo
	s_cselect_b32 s6, 1, s6
	s_xor_b32 s2, s7, s2
	v_mov_b32_e32 v9, 0
	s_and_b32 s2, s2, exec_lo
	s_cselect_b32 s2, s8, 1
	v_mov_b32_e32 v12, 0
	v_mov_b32_e32 v10, 0
	s_ashr_i32 s3, s2, 31
	s_ashr_i32 s7, s6, 31
	s_lshl_b64 s[2:3], s[2:3], 4
	s_waitcnt lgkmcnt(0)
	v_add_co_u32 v15, vcc_lo, s14, v15
	v_add_co_ci_u32_e64 v16, null, s15, v16, vcc_lo
	v_add_co_u32 v17, vcc_lo, s4, v17
	v_add_co_ci_u32_e64 v18, null, s5, v18, vcc_lo
	;; [unrolled: 2-line block ×4, first 2 shown]
	s_lshl_b64 s[4:5], s[6:7], 4
	.p2align	6
.LBB24_18:                              ; =>This Inner Loop Header: Depth=1
	global_load_dwordx4 v[19:22], v[15:16], off offset:-8
	global_load_dwordx4 v[23:26], v[17:18], off offset:-8
	v_add_co_u32 v15, vcc_lo, v15, s2
	v_add_co_ci_u32_e64 v16, null, s3, v16, vcc_lo
	v_add_co_u32 v17, vcc_lo, v17, s4
	v_add_co_ci_u32_e64 v18, null, s5, v18, vcc_lo
	s_add_i32 s10, s10, -1
	s_cmp_eq_u32 s10, 0
	s_waitcnt vmcnt(0)
	v_mul_f64 v[27:28], v[21:22], -v[25:26]
	v_mul_f64 v[21:22], v[21:22], v[23:24]
	v_fma_f64 v[23:24], v[23:24], v[19:20], v[27:28]
	v_fma_f64 v[19:20], v[25:26], v[19:20], v[21:22]
	v_add_f64 v[9:10], v[9:10], v[23:24]
	v_add_f64 v[11:12], v[11:12], v[19:20]
	s_cbranch_scc0 .LBB24_18
	s_branch .LBB24_24
.LBB24_19:
                                        ; implicit-def: $vgpr15_vgpr16
.LBB24_20:
	s_andn2_b32 vcc_lo, exec_lo, s7
	s_cbranch_vccnz .LBB24_22
; %bb.21:
	v_mul_lo_u32 v15, s9, v11
	v_mul_lo_u32 v16, s8, v12
	v_mad_u64_u32 v[11:12], null, s8, v11, 0
	v_add3_u32 v12, v12, v16, v15
.LBB24_22:
	v_mov_b32_e32 v16, v12
	v_mov_b32_e32 v15, v11
	s_load_dwordx2 s[0:1], s[4:5], 0x60
	s_cmp_lt_i32 s10, 1
	s_cbranch_scc0 .LBB24_17
.LBB24_23:
	v_mov_b32_e32 v11, 0
	v_mov_b32_e32 v9, 0
	v_mov_b32_e32 v12, 0
	v_mov_b32_e32 v10, 0
.LBB24_24:
	v_lshlrev_b64 v[13:14], 4, v[13:14]
	v_lshlrev_b32_e32 v0, 4, v0
	ds_write_b128 v0, v[9:12]
	s_waitcnt lgkmcnt(0)
	v_add_co_u32 v17, vcc_lo, s0, v13
	v_add_co_ci_u32_e64 v18, null, s1, v14, vcc_lo
	s_barrier
	buffer_gl0_inv
	global_load_dwordx4 v[9:12], v[17:18], off
	ds_read_b128 v[13:16], v0
	s_waitcnt lgkmcnt(0)
	v_mul_f64 v[19:20], v[15:16], -v[3:4]
	v_mul_f64 v[15:16], v[1:2], v[15:16]
	v_fma_f64 v[0:1], v[1:2], v[13:14], v[19:20]
	v_fma_f64 v[2:3], v[3:4], v[13:14], v[15:16]
	s_waitcnt vmcnt(0)
	v_mul_f64 v[21:22], v[7:8], -v[11:12]
	v_mul_f64 v[7:8], v[7:8], v[9:10]
	v_fma_f64 v[9:10], v[9:10], v[5:6], v[21:22]
	v_fma_f64 v[4:5], v[11:12], v[5:6], v[7:8]
	v_add_f64 v[0:1], v[9:10], v[0:1]
	v_add_f64 v[2:3], v[4:5], v[2:3]
	global_store_dwordx4 v[17:18], v[0:3], off
.LBB24_25:
	s_endpgm
	.section	.rodata,"a",@progbits
	.p2align	6, 0x0
	.amdhsa_kernel _ZN9rocsparseL17sddmm_coox_kernelILi512ELi1ELb0E21rocsparse_complex_numIdEiiS2_S2_S2_EEv20rocsparse_operation_S3_16rocsparse_order_S4_T4_S5_S5_T3_NS_24const_host_device_scalarIT2_EEPKT5_lPKT6_lS9_PT7_PKS6_SJ_21rocsparse_index_base_b
		.amdhsa_group_segment_fixed_size 8192
		.amdhsa_private_segment_fixed_size 0
		.amdhsa_kernarg_size 128
		.amdhsa_user_sgpr_count 6
		.amdhsa_user_sgpr_private_segment_buffer 1
		.amdhsa_user_sgpr_dispatch_ptr 0
		.amdhsa_user_sgpr_queue_ptr 0
		.amdhsa_user_sgpr_kernarg_segment_ptr 1
		.amdhsa_user_sgpr_dispatch_id 0
		.amdhsa_user_sgpr_flat_scratch_init 0
		.amdhsa_user_sgpr_private_segment_size 0
		.amdhsa_wavefront_size32 1
		.amdhsa_uses_dynamic_stack 0
		.amdhsa_system_sgpr_private_segment_wavefront_offset 0
		.amdhsa_system_sgpr_workgroup_id_x 1
		.amdhsa_system_sgpr_workgroup_id_y 0
		.amdhsa_system_sgpr_workgroup_id_z 0
		.amdhsa_system_sgpr_workgroup_info 0
		.amdhsa_system_vgpr_workitem_id 0
		.amdhsa_next_free_vgpr 29
		.amdhsa_next_free_sgpr 16
		.amdhsa_reserve_vcc 1
		.amdhsa_reserve_flat_scratch 0
		.amdhsa_float_round_mode_32 0
		.amdhsa_float_round_mode_16_64 0
		.amdhsa_float_denorm_mode_32 3
		.amdhsa_float_denorm_mode_16_64 3
		.amdhsa_dx10_clamp 1
		.amdhsa_ieee_mode 1
		.amdhsa_fp16_overflow 0
		.amdhsa_workgroup_processor_mode 1
		.amdhsa_memory_ordered 1
		.amdhsa_forward_progress 1
		.amdhsa_shared_vgpr_count 0
		.amdhsa_exception_fp_ieee_invalid_op 0
		.amdhsa_exception_fp_denorm_src 0
		.amdhsa_exception_fp_ieee_div_zero 0
		.amdhsa_exception_fp_ieee_overflow 0
		.amdhsa_exception_fp_ieee_underflow 0
		.amdhsa_exception_fp_ieee_inexact 0
		.amdhsa_exception_int_div_zero 0
	.end_amdhsa_kernel
	.section	.text._ZN9rocsparseL17sddmm_coox_kernelILi512ELi1ELb0E21rocsparse_complex_numIdEiiS2_S2_S2_EEv20rocsparse_operation_S3_16rocsparse_order_S4_T4_S5_S5_T3_NS_24const_host_device_scalarIT2_EEPKT5_lPKT6_lS9_PT7_PKS6_SJ_21rocsparse_index_base_b,"axG",@progbits,_ZN9rocsparseL17sddmm_coox_kernelILi512ELi1ELb0E21rocsparse_complex_numIdEiiS2_S2_S2_EEv20rocsparse_operation_S3_16rocsparse_order_S4_T4_S5_S5_T3_NS_24const_host_device_scalarIT2_EEPKT5_lPKT6_lS9_PT7_PKS6_SJ_21rocsparse_index_base_b,comdat
.Lfunc_end24:
	.size	_ZN9rocsparseL17sddmm_coox_kernelILi512ELi1ELb0E21rocsparse_complex_numIdEiiS2_S2_S2_EEv20rocsparse_operation_S3_16rocsparse_order_S4_T4_S5_S5_T3_NS_24const_host_device_scalarIT2_EEPKT5_lPKT6_lS9_PT7_PKS6_SJ_21rocsparse_index_base_b, .Lfunc_end24-_ZN9rocsparseL17sddmm_coox_kernelILi512ELi1ELb0E21rocsparse_complex_numIdEiiS2_S2_S2_EEv20rocsparse_operation_S3_16rocsparse_order_S4_T4_S5_S5_T3_NS_24const_host_device_scalarIT2_EEPKT5_lPKT6_lS9_PT7_PKS6_SJ_21rocsparse_index_base_b
                                        ; -- End function
	.set _ZN9rocsparseL17sddmm_coox_kernelILi512ELi1ELb0E21rocsparse_complex_numIdEiiS2_S2_S2_EEv20rocsparse_operation_S3_16rocsparse_order_S4_T4_S5_S5_T3_NS_24const_host_device_scalarIT2_EEPKT5_lPKT6_lS9_PT7_PKS6_SJ_21rocsparse_index_base_b.num_vgpr, 29
	.set _ZN9rocsparseL17sddmm_coox_kernelILi512ELi1ELb0E21rocsparse_complex_numIdEiiS2_S2_S2_EEv20rocsparse_operation_S3_16rocsparse_order_S4_T4_S5_S5_T3_NS_24const_host_device_scalarIT2_EEPKT5_lPKT6_lS9_PT7_PKS6_SJ_21rocsparse_index_base_b.num_agpr, 0
	.set _ZN9rocsparseL17sddmm_coox_kernelILi512ELi1ELb0E21rocsparse_complex_numIdEiiS2_S2_S2_EEv20rocsparse_operation_S3_16rocsparse_order_S4_T4_S5_S5_T3_NS_24const_host_device_scalarIT2_EEPKT5_lPKT6_lS9_PT7_PKS6_SJ_21rocsparse_index_base_b.numbered_sgpr, 16
	.set _ZN9rocsparseL17sddmm_coox_kernelILi512ELi1ELb0E21rocsparse_complex_numIdEiiS2_S2_S2_EEv20rocsparse_operation_S3_16rocsparse_order_S4_T4_S5_S5_T3_NS_24const_host_device_scalarIT2_EEPKT5_lPKT6_lS9_PT7_PKS6_SJ_21rocsparse_index_base_b.num_named_barrier, 0
	.set _ZN9rocsparseL17sddmm_coox_kernelILi512ELi1ELb0E21rocsparse_complex_numIdEiiS2_S2_S2_EEv20rocsparse_operation_S3_16rocsparse_order_S4_T4_S5_S5_T3_NS_24const_host_device_scalarIT2_EEPKT5_lPKT6_lS9_PT7_PKS6_SJ_21rocsparse_index_base_b.private_seg_size, 0
	.set _ZN9rocsparseL17sddmm_coox_kernelILi512ELi1ELb0E21rocsparse_complex_numIdEiiS2_S2_S2_EEv20rocsparse_operation_S3_16rocsparse_order_S4_T4_S5_S5_T3_NS_24const_host_device_scalarIT2_EEPKT5_lPKT6_lS9_PT7_PKS6_SJ_21rocsparse_index_base_b.uses_vcc, 1
	.set _ZN9rocsparseL17sddmm_coox_kernelILi512ELi1ELb0E21rocsparse_complex_numIdEiiS2_S2_S2_EEv20rocsparse_operation_S3_16rocsparse_order_S4_T4_S5_S5_T3_NS_24const_host_device_scalarIT2_EEPKT5_lPKT6_lS9_PT7_PKS6_SJ_21rocsparse_index_base_b.uses_flat_scratch, 0
	.set _ZN9rocsparseL17sddmm_coox_kernelILi512ELi1ELb0E21rocsparse_complex_numIdEiiS2_S2_S2_EEv20rocsparse_operation_S3_16rocsparse_order_S4_T4_S5_S5_T3_NS_24const_host_device_scalarIT2_EEPKT5_lPKT6_lS9_PT7_PKS6_SJ_21rocsparse_index_base_b.has_dyn_sized_stack, 0
	.set _ZN9rocsparseL17sddmm_coox_kernelILi512ELi1ELb0E21rocsparse_complex_numIdEiiS2_S2_S2_EEv20rocsparse_operation_S3_16rocsparse_order_S4_T4_S5_S5_T3_NS_24const_host_device_scalarIT2_EEPKT5_lPKT6_lS9_PT7_PKS6_SJ_21rocsparse_index_base_b.has_recursion, 0
	.set _ZN9rocsparseL17sddmm_coox_kernelILi512ELi1ELb0E21rocsparse_complex_numIdEiiS2_S2_S2_EEv20rocsparse_operation_S3_16rocsparse_order_S4_T4_S5_S5_T3_NS_24const_host_device_scalarIT2_EEPKT5_lPKT6_lS9_PT7_PKS6_SJ_21rocsparse_index_base_b.has_indirect_call, 0
	.section	.AMDGPU.csdata,"",@progbits
; Kernel info:
; codeLenInByte = 1132
; TotalNumSgprs: 18
; NumVgprs: 29
; ScratchSize: 0
; MemoryBound: 0
; FloatMode: 240
; IeeeMode: 1
; LDSByteSize: 8192 bytes/workgroup (compile time only)
; SGPRBlocks: 0
; VGPRBlocks: 3
; NumSGPRsForWavesPerEU: 18
; NumVGPRsForWavesPerEU: 29
; Occupancy: 16
; WaveLimiterHint : 0
; COMPUTE_PGM_RSRC2:SCRATCH_EN: 0
; COMPUTE_PGM_RSRC2:USER_SGPR: 6
; COMPUTE_PGM_RSRC2:TRAP_HANDLER: 0
; COMPUTE_PGM_RSRC2:TGID_X_EN: 1
; COMPUTE_PGM_RSRC2:TGID_Y_EN: 0
; COMPUTE_PGM_RSRC2:TGID_Z_EN: 0
; COMPUTE_PGM_RSRC2:TIDIG_COMP_CNT: 0
	.section	.text._ZN9rocsparseL24sddmm_coox_sample_kernelILi512ELb0EDF16_llDF16_EEvT3_S1_T2_PKT4_S1_PS3_PKS2_S8_21rocsparse_index_base_,"axG",@progbits,_ZN9rocsparseL24sddmm_coox_sample_kernelILi512ELb0EDF16_llDF16_EEvT3_S1_T2_PKT4_S1_PS3_PKS2_S8_21rocsparse_index_base_,comdat
	.globl	_ZN9rocsparseL24sddmm_coox_sample_kernelILi512ELb0EDF16_llDF16_EEvT3_S1_T2_PKT4_S1_PS3_PKS2_S8_21rocsparse_index_base_ ; -- Begin function _ZN9rocsparseL24sddmm_coox_sample_kernelILi512ELb0EDF16_llDF16_EEvT3_S1_T2_PKT4_S1_PS3_PKS2_S8_21rocsparse_index_base_
	.p2align	8
	.type	_ZN9rocsparseL24sddmm_coox_sample_kernelILi512ELb0EDF16_llDF16_EEvT3_S1_T2_PKT4_S1_PS3_PKS2_S8_21rocsparse_index_base_,@function
_ZN9rocsparseL24sddmm_coox_sample_kernelILi512ELb0EDF16_llDF16_EEvT3_S1_T2_PKT4_S1_PS3_PKS2_S8_21rocsparse_index_base_: ; @_ZN9rocsparseL24sddmm_coox_sample_kernelILi512ELb0EDF16_llDF16_EEvT3_S1_T2_PKT4_S1_PS3_PKS2_S8_21rocsparse_index_base_
; %bb.0:
	s_load_dwordx2 s[2:3], s[4:5], 0x10
	v_lshl_or_b32 v0, s6, 9, v0
	v_mov_b32_e32 v1, 0
	s_mov_b32 s0, exec_lo
	s_waitcnt lgkmcnt(0)
	v_cmpx_gt_i64_e64 s[2:3], v[0:1]
	s_cbranch_execz .LBB25_3
; %bb.1:
	s_clause 0x3
	s_load_dword s0, s[4:5], 0x48
	s_load_dwordx2 s[12:13], s[4:5], 0x38
	s_load_dword s1, s[4:5], 0x40
	s_load_dwordx8 s[4:11], s[4:5], 0x18
	v_mov_b32_e32 v3, v1
	v_mov_b32_e32 v2, v0
	s_mov_b32 s15, 0
	s_waitcnt lgkmcnt(0)
	s_lshl_b32 s14, s0, 9
	v_add_nc_u32_e32 v0, s14, v0
.LBB25_2:                               ; =>This Inner Loop Header: Depth=1
	v_lshlrev_b64 v[4:5], 3, v[2:3]
	v_add_co_u32 v6, vcc_lo, s12, v4
	v_add_co_ci_u32_e64 v7, null, s13, v5, vcc_lo
	v_add_co_u32 v4, vcc_lo, s10, v4
	v_add_co_ci_u32_e64 v5, null, s11, v5, vcc_lo
	global_load_dwordx2 v[6:7], v[6:7], off
	global_load_dwordx2 v[4:5], v[4:5], off
	s_waitcnt vmcnt(1)
	v_sub_co_u32 v6, vcc_lo, v6, s1
	v_subrev_co_ci_u32_e64 v7, null, 0, v7, vcc_lo
	s_waitcnt vmcnt(0)
	v_sub_co_u32 v4, vcc_lo, v4, s1
	v_mul_lo_u32 v9, v6, s7
	v_mul_lo_u32 v8, v7, s6
	v_mad_u64_u32 v[6:7], null, v6, s6, 0
	v_subrev_co_ci_u32_e64 v5, null, 0, v5, vcc_lo
	v_lshlrev_b64 v[4:5], 1, v[4:5]
	v_add3_u32 v7, v7, v9, v8
	v_lshlrev_b64 v[6:7], 1, v[6:7]
	v_add_co_u32 v6, vcc_lo, s4, v6
	v_add_co_ci_u32_e64 v7, null, s5, v7, vcc_lo
	v_add_co_u32 v4, vcc_lo, v6, v4
	v_add_co_ci_u32_e64 v5, null, v7, v5, vcc_lo
	v_cmp_le_u64_e32 vcc_lo, s[2:3], v[0:1]
	global_load_ushort v6, v[4:5], off
	v_lshlrev_b64 v[4:5], 1, v[2:3]
	v_mov_b32_e32 v3, v1
	v_mov_b32_e32 v2, v0
	v_add_nc_u32_e32 v0, s14, v0
	s_or_b32 s15, vcc_lo, s15
	v_add_co_u32 v4, s0, s8, v4
	v_add_co_ci_u32_e64 v5, null, s9, v5, s0
	s_waitcnt vmcnt(0)
	global_store_short v[4:5], v6, off
	s_andn2_b32 exec_lo, exec_lo, s15
	s_cbranch_execnz .LBB25_2
.LBB25_3:
	s_endpgm
	.section	.rodata,"a",@progbits
	.p2align	6, 0x0
	.amdhsa_kernel _ZN9rocsparseL24sddmm_coox_sample_kernelILi512ELb0EDF16_llDF16_EEvT3_S1_T2_PKT4_S1_PS3_PKS2_S8_21rocsparse_index_base_
		.amdhsa_group_segment_fixed_size 0
		.amdhsa_private_segment_fixed_size 0
		.amdhsa_kernarg_size 328
		.amdhsa_user_sgpr_count 6
		.amdhsa_user_sgpr_private_segment_buffer 1
		.amdhsa_user_sgpr_dispatch_ptr 0
		.amdhsa_user_sgpr_queue_ptr 0
		.amdhsa_user_sgpr_kernarg_segment_ptr 1
		.amdhsa_user_sgpr_dispatch_id 0
		.amdhsa_user_sgpr_flat_scratch_init 0
		.amdhsa_user_sgpr_private_segment_size 0
		.amdhsa_wavefront_size32 1
		.amdhsa_uses_dynamic_stack 0
		.amdhsa_system_sgpr_private_segment_wavefront_offset 0
		.amdhsa_system_sgpr_workgroup_id_x 1
		.amdhsa_system_sgpr_workgroup_id_y 0
		.amdhsa_system_sgpr_workgroup_id_z 0
		.amdhsa_system_sgpr_workgroup_info 0
		.amdhsa_system_vgpr_workitem_id 0
		.amdhsa_next_free_vgpr 10
		.amdhsa_next_free_sgpr 16
		.amdhsa_reserve_vcc 1
		.amdhsa_reserve_flat_scratch 0
		.amdhsa_float_round_mode_32 0
		.amdhsa_float_round_mode_16_64 0
		.amdhsa_float_denorm_mode_32 3
		.amdhsa_float_denorm_mode_16_64 3
		.amdhsa_dx10_clamp 1
		.amdhsa_ieee_mode 1
		.amdhsa_fp16_overflow 0
		.amdhsa_workgroup_processor_mode 1
		.amdhsa_memory_ordered 1
		.amdhsa_forward_progress 1
		.amdhsa_shared_vgpr_count 0
		.amdhsa_exception_fp_ieee_invalid_op 0
		.amdhsa_exception_fp_denorm_src 0
		.amdhsa_exception_fp_ieee_div_zero 0
		.amdhsa_exception_fp_ieee_overflow 0
		.amdhsa_exception_fp_ieee_underflow 0
		.amdhsa_exception_fp_ieee_inexact 0
		.amdhsa_exception_int_div_zero 0
	.end_amdhsa_kernel
	.section	.text._ZN9rocsparseL24sddmm_coox_sample_kernelILi512ELb0EDF16_llDF16_EEvT3_S1_T2_PKT4_S1_PS3_PKS2_S8_21rocsparse_index_base_,"axG",@progbits,_ZN9rocsparseL24sddmm_coox_sample_kernelILi512ELb0EDF16_llDF16_EEvT3_S1_T2_PKT4_S1_PS3_PKS2_S8_21rocsparse_index_base_,comdat
.Lfunc_end25:
	.size	_ZN9rocsparseL24sddmm_coox_sample_kernelILi512ELb0EDF16_llDF16_EEvT3_S1_T2_PKT4_S1_PS3_PKS2_S8_21rocsparse_index_base_, .Lfunc_end25-_ZN9rocsparseL24sddmm_coox_sample_kernelILi512ELb0EDF16_llDF16_EEvT3_S1_T2_PKT4_S1_PS3_PKS2_S8_21rocsparse_index_base_
                                        ; -- End function
	.set _ZN9rocsparseL24sddmm_coox_sample_kernelILi512ELb0EDF16_llDF16_EEvT3_S1_T2_PKT4_S1_PS3_PKS2_S8_21rocsparse_index_base_.num_vgpr, 10
	.set _ZN9rocsparseL24sddmm_coox_sample_kernelILi512ELb0EDF16_llDF16_EEvT3_S1_T2_PKT4_S1_PS3_PKS2_S8_21rocsparse_index_base_.num_agpr, 0
	.set _ZN9rocsparseL24sddmm_coox_sample_kernelILi512ELb0EDF16_llDF16_EEvT3_S1_T2_PKT4_S1_PS3_PKS2_S8_21rocsparse_index_base_.numbered_sgpr, 16
	.set _ZN9rocsparseL24sddmm_coox_sample_kernelILi512ELb0EDF16_llDF16_EEvT3_S1_T2_PKT4_S1_PS3_PKS2_S8_21rocsparse_index_base_.num_named_barrier, 0
	.set _ZN9rocsparseL24sddmm_coox_sample_kernelILi512ELb0EDF16_llDF16_EEvT3_S1_T2_PKT4_S1_PS3_PKS2_S8_21rocsparse_index_base_.private_seg_size, 0
	.set _ZN9rocsparseL24sddmm_coox_sample_kernelILi512ELb0EDF16_llDF16_EEvT3_S1_T2_PKT4_S1_PS3_PKS2_S8_21rocsparse_index_base_.uses_vcc, 1
	.set _ZN9rocsparseL24sddmm_coox_sample_kernelILi512ELb0EDF16_llDF16_EEvT3_S1_T2_PKT4_S1_PS3_PKS2_S8_21rocsparse_index_base_.uses_flat_scratch, 0
	.set _ZN9rocsparseL24sddmm_coox_sample_kernelILi512ELb0EDF16_llDF16_EEvT3_S1_T2_PKT4_S1_PS3_PKS2_S8_21rocsparse_index_base_.has_dyn_sized_stack, 0
	.set _ZN9rocsparseL24sddmm_coox_sample_kernelILi512ELb0EDF16_llDF16_EEvT3_S1_T2_PKT4_S1_PS3_PKS2_S8_21rocsparse_index_base_.has_recursion, 0
	.set _ZN9rocsparseL24sddmm_coox_sample_kernelILi512ELb0EDF16_llDF16_EEvT3_S1_T2_PKT4_S1_PS3_PKS2_S8_21rocsparse_index_base_.has_indirect_call, 0
	.section	.AMDGPU.csdata,"",@progbits
; Kernel info:
; codeLenInByte = 352
; TotalNumSgprs: 18
; NumVgprs: 10
; ScratchSize: 0
; MemoryBound: 0
; FloatMode: 240
; IeeeMode: 1
; LDSByteSize: 0 bytes/workgroup (compile time only)
; SGPRBlocks: 0
; VGPRBlocks: 1
; NumSGPRsForWavesPerEU: 18
; NumVGPRsForWavesPerEU: 10
; Occupancy: 16
; WaveLimiterHint : 1
; COMPUTE_PGM_RSRC2:SCRATCH_EN: 0
; COMPUTE_PGM_RSRC2:USER_SGPR: 6
; COMPUTE_PGM_RSRC2:TRAP_HANDLER: 0
; COMPUTE_PGM_RSRC2:TGID_X_EN: 1
; COMPUTE_PGM_RSRC2:TGID_Y_EN: 0
; COMPUTE_PGM_RSRC2:TGID_Z_EN: 0
; COMPUTE_PGM_RSRC2:TIDIG_COMP_CNT: 0
	.section	.text._ZN9rocsparseL17sddmm_coox_kernelILi512ELi8ELb0EDF16_llDF16_DF16_DF16_EEv20rocsparse_operation_S1_16rocsparse_order_S2_T4_S3_S3_T3_NS_24const_host_device_scalarIT2_EEPKT5_lPKT6_lS7_PT7_PKS4_SH_21rocsparse_index_base_b,"axG",@progbits,_ZN9rocsparseL17sddmm_coox_kernelILi512ELi8ELb0EDF16_llDF16_DF16_DF16_EEv20rocsparse_operation_S1_16rocsparse_order_S2_T4_S3_S3_T3_NS_24const_host_device_scalarIT2_EEPKT5_lPKT6_lS7_PT7_PKS4_SH_21rocsparse_index_base_b,comdat
	.globl	_ZN9rocsparseL17sddmm_coox_kernelILi512ELi8ELb0EDF16_llDF16_DF16_DF16_EEv20rocsparse_operation_S1_16rocsparse_order_S2_T4_S3_S3_T3_NS_24const_host_device_scalarIT2_EEPKT5_lPKT6_lS7_PT7_PKS4_SH_21rocsparse_index_base_b ; -- Begin function _ZN9rocsparseL17sddmm_coox_kernelILi512ELi8ELb0EDF16_llDF16_DF16_DF16_EEv20rocsparse_operation_S1_16rocsparse_order_S2_T4_S3_S3_T3_NS_24const_host_device_scalarIT2_EEPKT5_lPKT6_lS7_PT7_PKS4_SH_21rocsparse_index_base_b
	.p2align	8
	.type	_ZN9rocsparseL17sddmm_coox_kernelILi512ELi8ELb0EDF16_llDF16_DF16_DF16_EEv20rocsparse_operation_S1_16rocsparse_order_S2_T4_S3_S3_T3_NS_24const_host_device_scalarIT2_EEPKT5_lPKT6_lS7_PT7_PKS4_SH_21rocsparse_index_base_b,@function
_ZN9rocsparseL17sddmm_coox_kernelILi512ELi8ELb0EDF16_llDF16_DF16_DF16_EEv20rocsparse_operation_S1_16rocsparse_order_S2_T4_S3_S3_T3_NS_24const_host_device_scalarIT2_EEPKT5_lPKT6_lS7_PT7_PKS4_SH_21rocsparse_index_base_b: ; @_ZN9rocsparseL17sddmm_coox_kernelILi512ELi8ELb0EDF16_llDF16_DF16_DF16_EEv20rocsparse_operation_S1_16rocsparse_order_S2_T4_S3_S3_T3_NS_24const_host_device_scalarIT2_EEPKT5_lPKT6_lS7_PT7_PKS4_SH_21rocsparse_index_base_b
; %bb.0:
	s_clause 0x2
	s_load_dwordx2 s[16:17], s[4:5], 0x78
	s_load_dwordx2 s[0:1], s[4:5], 0x30
	s_load_dwordx4 s[12:15], s[4:5], 0x50
	s_waitcnt lgkmcnt(0)
	s_bitcmp1_b32 s17, 0
	v_mov_b32_e32 v11, s0
	s_cselect_b32 s2, -1, 0
	s_and_b32 vcc_lo, exec_lo, s2
	s_xor_b32 s2, s2, -1
	s_cbranch_vccnz .LBB26_2
; %bb.1:
	v_mov_b32_e32 v1, 0
	global_load_ushort v11, v1, s[0:1]
.LBB26_2:
	v_mov_b32_e32 v12, s14
	s_andn2_b32 vcc_lo, exec_lo, s2
	s_cbranch_vccnz .LBB26_4
; %bb.3:
	v_mov_b32_e32 v1, 0
	global_load_ushort v12, v1, s[14:15]
.LBB26_4:
	s_waitcnt vmcnt(0)
	v_cmp_eq_f16_e32 vcc_lo, 0, v11
	v_cmp_eq_f16_e64 s0, 1.0, v12
	s_and_b32 s0, vcc_lo, s0
	s_and_b32 vcc_lo, exec_lo, s0
	s_cbranch_vccnz .LBB26_34
; %bb.5:
	s_load_dwordx4 s[8:11], s[4:5], 0x20
	v_lshrrev_b32_e32 v13, 3, v0
	v_mov_b32_e32 v2, 0
	s_mov_b32 s0, exec_lo
	v_lshl_or_b32 v1, s6, 6, v13
	s_waitcnt lgkmcnt(0)
	v_cmpx_gt_i64_e64 s[10:11], v[1:2]
	s_cbranch_execz .LBB26_34
; %bb.6:
	s_load_dwordx4 s[0:3], s[4:5], 0x68
	v_lshlrev_b64 v[3:4], 3, v[1:2]
	s_waitcnt lgkmcnt(0)
	v_add_co_u32 v5, vcc_lo, s0, v3
	v_add_co_ci_u32_e64 v6, null, s1, v4, vcc_lo
	v_add_co_u32 v3, vcc_lo, s2, v3
	v_add_co_ci_u32_e64 v4, null, s3, v4, vcc_lo
	global_load_dwordx2 v[5:6], v[5:6], off
	global_load_dwordx2 v[3:4], v[3:4], off
	s_clause 0x1
	s_load_dwordx4 s[0:3], s[4:5], 0x0
	s_load_dwordx2 s[6:7], s[4:5], 0x40
	s_waitcnt lgkmcnt(0)
	s_cmp_eq_u32 s2, 1
	s_cselect_b32 s10, -1, 0
	s_cmpk_eq_i32 s0, 0x6f
	s_cselect_b32 s11, -1, 0
	s_cmpk_lg_i32 s0, 0x6f
	s_cselect_b32 s0, -1, 0
	s_cmp_lg_u32 s2, 1
	s_waitcnt vmcnt(1)
	v_sub_co_u32 v7, vcc_lo, v5, s16
	v_subrev_co_ci_u32_e64 v8, null, 0, v6, vcc_lo
	s_cbranch_scc0 .LBB26_10
; %bb.7:
	v_mov_b32_e32 v5, v7
	v_mov_b32_e32 v6, v8
	s_andn2_b32 vcc_lo, exec_lo, s11
	s_cbranch_vccnz .LBB26_9
; %bb.8:
	v_mul_lo_u32 v9, v8, s6
	v_mul_lo_u32 v10, v7, s7
	v_mad_u64_u32 v[5:6], null, v7, s6, 0
	v_add3_u32 v6, v6, v10, v9
.LBB26_9:
	s_cbranch_execz .LBB26_11
	s_branch .LBB26_14
.LBB26_10:
                                        ; implicit-def: $vgpr5_vgpr6
.LBB26_11:
	s_andn2_b32 vcc_lo, exec_lo, s0
	s_cbranch_vccnz .LBB26_13
; %bb.12:
	v_mul_lo_u32 v5, v8, s6
	v_mul_lo_u32 v6, v7, s7
	v_mad_u64_u32 v[7:8], null, v7, s6, 0
	v_add3_u32 v8, v8, v6, v5
.LBB26_13:
	v_mov_b32_e32 v5, v7
	v_mov_b32_e32 v6, v8
.LBB26_14:
	s_cmp_eq_u32 s3, 1
	s_waitcnt vmcnt(0)
	v_sub_co_u32 v3, vcc_lo, v3, s16
	s_cselect_b32 s0, -1, 0
	s_cmpk_eq_i32 s1, 0x6f
	v_subrev_co_ci_u32_e64 v4, null, 0, v4, vcc_lo
	s_cselect_b32 s14, -1, 0
	s_cmpk_lg_i32 s1, 0x6f
	s_cselect_b32 s1, -1, 0
	s_cmp_lg_u32 s3, 1
	s_cbranch_scc0 .LBB26_18
; %bb.15:
	v_mov_b32_e32 v8, v4
	v_mov_b32_e32 v7, v3
	s_andn2_b32 vcc_lo, exec_lo, s1
	s_cbranch_vccnz .LBB26_17
; %bb.16:
	v_mul_lo_u32 v9, v4, s12
	v_mul_lo_u32 v10, v3, s13
	v_mad_u64_u32 v[7:8], null, v3, s12, 0
	v_add3_u32 v8, v8, v10, v9
.LBB26_17:
	s_cbranch_execz .LBB26_19
	s_branch .LBB26_22
.LBB26_18:
                                        ; implicit-def: $vgpr7_vgpr8
.LBB26_19:
	s_andn2_b32 vcc_lo, exec_lo, s14
	s_cbranch_vccnz .LBB26_21
; %bb.20:
	v_mul_lo_u32 v7, v4, s12
	v_mul_lo_u32 v8, v3, s13
	v_mad_u64_u32 v[3:4], null, v3, s12, 0
	v_add3_u32 v4, v4, v8, v7
.LBB26_21:
	v_mov_b32_e32 v8, v4
	v_mov_b32_e32 v7, v3
.LBB26_22:
	s_load_dwordx2 s[2:3], s[4:5], 0x60
	v_and_b32_e32 v3, 7, v0
	v_mov_b32_e32 v4, 0
	s_mov_b32 s1, exec_lo
	v_cmpx_gt_i64_e64 s[8:9], v[3:4]
	s_cbranch_execz .LBB26_26
; %bb.23:
	s_xor_b32 s10, s11, s10
	v_lshlrev_b64 v[7:8], 1, v[7:8]
	s_and_b32 s10, s10, exec_lo
	s_cselect_b32 s7, 0, s7
	s_cselect_b32 s6, 1, s6
	s_xor_b32 s0, s14, s0
	v_mad_u64_u32 v[9:10], null, s6, v3, 0
	s_and_b32 s0, s0, exec_lo
	s_cselect_b32 s12, s12, 1
	s_cselect_b32 s13, s13, 0
	v_mad_u64_u32 v[14:15], null, s12, v3, 0
	s_load_dwordx2 s[10:11], s[4:5], 0x38
	v_mov_b32_e32 v0, v10
	s_load_dwordx2 s[4:5], s[4:5], 0x48
	v_mov_b32_e32 v10, v15
	v_mad_u64_u32 v[15:16], null, s7, v3, v[0:1]
	v_mov_b32_e32 v0, 0
	s_lshl_b64 s[6:7], s[6:7], 4
	v_mad_u64_u32 v[16:17], null, s13, v3, v[10:11]
	v_lshlrev_b64 v[17:18], 1, v[5:6]
	v_mov_b32_e32 v6, v4
	v_mov_b32_e32 v10, v15
	;; [unrolled: 1-line block ×4, first 2 shown]
	v_lshlrev_b64 v[9:10], 1, v[9:10]
	v_lshlrev_b64 v[14:15], 1, v[14:15]
	v_add_co_u32 v4, vcc_lo, v9, v17
	v_add_co_ci_u32_e64 v9, null, v10, v18, vcc_lo
	v_add_co_u32 v10, vcc_lo, v14, v7
	v_add_co_ci_u32_e64 v14, null, v15, v8, vcc_lo
	s_waitcnt lgkmcnt(0)
	v_add_co_u32 v7, vcc_lo, s10, v4
	v_add_co_ci_u32_e64 v8, null, s11, v9, vcc_lo
	v_add_co_u32 v9, vcc_lo, s4, v10
	v_add_co_ci_u32_e64 v10, null, s5, v14, vcc_lo
	v_mov_b32_e32 v4, v0
	s_mov_b32 s10, 0
	s_lshl_b64 s[4:5], s[12:13], 4
	.p2align	6
.LBB26_24:                              ; =>This Inner Loop Header: Depth=1
	global_load_ushort v0, v[7:8], off
	global_load_ushort v14, v[9:10], off
	v_add_co_u32 v5, vcc_lo, v5, 8
	v_add_co_ci_u32_e64 v6, null, 0, v6, vcc_lo
	v_add_co_u32 v9, vcc_lo, v9, s4
	v_add_co_ci_u32_e64 v10, null, s5, v10, vcc_lo
	v_cmp_le_i64_e32 vcc_lo, s[8:9], v[5:6]
	v_add_co_u32 v7, s0, v7, s6
	v_add_co_ci_u32_e64 v8, null, s7, v8, s0
	s_or_b32 s10, vcc_lo, s10
	s_waitcnt vmcnt(0)
	v_fmac_f16_e32 v4, v0, v14
	s_andn2_b32 exec_lo, exec_lo, s10
	s_cbranch_execnz .LBB26_24
; %bb.25:
	s_or_b32 exec_lo, exec_lo, s10
.LBB26_26:
	s_or_b32 exec_lo, exec_lo, s1
	v_lshlrev_b32_e32 v0, 4, v13
	s_mov_b32 s0, exec_lo
	v_lshl_or_b32 v5, v3, 1, v0
	ds_write_b16 v5, v4
	s_waitcnt lgkmcnt(0)
	s_barrier
	buffer_gl0_inv
	v_cmpx_gt_u32_e32 4, v3
	s_cbranch_execz .LBB26_28
; %bb.27:
	ds_read_u16 v4, v5
	ds_read_u16 v6, v5 offset:8
	s_waitcnt lgkmcnt(0)
	v_add_f16_e32 v4, v6, v4
	ds_write_b16 v5, v4
.LBB26_28:
	s_or_b32 exec_lo, exec_lo, s0
	s_mov_b32 s0, exec_lo
	s_waitcnt lgkmcnt(0)
	s_barrier
	buffer_gl0_inv
	v_cmpx_gt_u32_e32 2, v3
	s_cbranch_execz .LBB26_30
; %bb.29:
	ds_read_u16 v4, v5
	ds_read_u16 v6, v5 offset:4
	s_waitcnt lgkmcnt(0)
	v_add_f16_e32 v4, v6, v4
	ds_write_b16 v5, v4
.LBB26_30:
	s_or_b32 exec_lo, exec_lo, s0
	v_cmp_eq_u32_e32 vcc_lo, 0, v3
	s_waitcnt lgkmcnt(0)
	s_barrier
	buffer_gl0_inv
	s_and_saveexec_b32 s0, vcc_lo
	s_cbranch_execz .LBB26_32
; %bb.31:
	ds_read_u16 v3, v5
	ds_read_u16 v4, v5 offset:2
	s_waitcnt lgkmcnt(0)
	v_add_f16_e32 v3, v4, v3
	ds_write_b16 v5, v3
.LBB26_32:
	s_or_b32 exec_lo, exec_lo, s0
	s_waitcnt lgkmcnt(0)
	s_barrier
	buffer_gl0_inv
	s_and_b32 exec_lo, exec_lo, vcc_lo
	s_cbranch_execz .LBB26_34
; %bb.33:
	v_lshlrev_b64 v[1:2], 1, v[1:2]
	ds_read_u16 v0, v0
	v_add_co_u32 v1, vcc_lo, s2, v1
	v_add_co_ci_u32_e64 v2, null, s3, v2, vcc_lo
	global_load_ushort v3, v[1:2], off
	s_waitcnt lgkmcnt(0)
	v_mul_f16_e32 v0, v11, v0
	s_waitcnt vmcnt(0)
	v_fmac_f16_e32 v0, v12, v3
	global_store_short v[1:2], v0, off
.LBB26_34:
	s_endpgm
	.section	.rodata,"a",@progbits
	.p2align	6, 0x0
	.amdhsa_kernel _ZN9rocsparseL17sddmm_coox_kernelILi512ELi8ELb0EDF16_llDF16_DF16_DF16_EEv20rocsparse_operation_S1_16rocsparse_order_S2_T4_S3_S3_T3_NS_24const_host_device_scalarIT2_EEPKT5_lPKT6_lS7_PT7_PKS4_SH_21rocsparse_index_base_b
		.amdhsa_group_segment_fixed_size 1024
		.amdhsa_private_segment_fixed_size 0
		.amdhsa_kernarg_size 128
		.amdhsa_user_sgpr_count 6
		.amdhsa_user_sgpr_private_segment_buffer 1
		.amdhsa_user_sgpr_dispatch_ptr 0
		.amdhsa_user_sgpr_queue_ptr 0
		.amdhsa_user_sgpr_kernarg_segment_ptr 1
		.amdhsa_user_sgpr_dispatch_id 0
		.amdhsa_user_sgpr_flat_scratch_init 0
		.amdhsa_user_sgpr_private_segment_size 0
		.amdhsa_wavefront_size32 1
		.amdhsa_uses_dynamic_stack 0
		.amdhsa_system_sgpr_private_segment_wavefront_offset 0
		.amdhsa_system_sgpr_workgroup_id_x 1
		.amdhsa_system_sgpr_workgroup_id_y 0
		.amdhsa_system_sgpr_workgroup_id_z 0
		.amdhsa_system_sgpr_workgroup_info 0
		.amdhsa_system_vgpr_workitem_id 0
		.amdhsa_next_free_vgpr 19
		.amdhsa_next_free_sgpr 18
		.amdhsa_reserve_vcc 1
		.amdhsa_reserve_flat_scratch 0
		.amdhsa_float_round_mode_32 0
		.amdhsa_float_round_mode_16_64 0
		.amdhsa_float_denorm_mode_32 3
		.amdhsa_float_denorm_mode_16_64 3
		.amdhsa_dx10_clamp 1
		.amdhsa_ieee_mode 1
		.amdhsa_fp16_overflow 0
		.amdhsa_workgroup_processor_mode 1
		.amdhsa_memory_ordered 1
		.amdhsa_forward_progress 1
		.amdhsa_shared_vgpr_count 0
		.amdhsa_exception_fp_ieee_invalid_op 0
		.amdhsa_exception_fp_denorm_src 0
		.amdhsa_exception_fp_ieee_div_zero 0
		.amdhsa_exception_fp_ieee_overflow 0
		.amdhsa_exception_fp_ieee_underflow 0
		.amdhsa_exception_fp_ieee_inexact 0
		.amdhsa_exception_int_div_zero 0
	.end_amdhsa_kernel
	.section	.text._ZN9rocsparseL17sddmm_coox_kernelILi512ELi8ELb0EDF16_llDF16_DF16_DF16_EEv20rocsparse_operation_S1_16rocsparse_order_S2_T4_S3_S3_T3_NS_24const_host_device_scalarIT2_EEPKT5_lPKT6_lS7_PT7_PKS4_SH_21rocsparse_index_base_b,"axG",@progbits,_ZN9rocsparseL17sddmm_coox_kernelILi512ELi8ELb0EDF16_llDF16_DF16_DF16_EEv20rocsparse_operation_S1_16rocsparse_order_S2_T4_S3_S3_T3_NS_24const_host_device_scalarIT2_EEPKT5_lPKT6_lS7_PT7_PKS4_SH_21rocsparse_index_base_b,comdat
.Lfunc_end26:
	.size	_ZN9rocsparseL17sddmm_coox_kernelILi512ELi8ELb0EDF16_llDF16_DF16_DF16_EEv20rocsparse_operation_S1_16rocsparse_order_S2_T4_S3_S3_T3_NS_24const_host_device_scalarIT2_EEPKT5_lPKT6_lS7_PT7_PKS4_SH_21rocsparse_index_base_b, .Lfunc_end26-_ZN9rocsparseL17sddmm_coox_kernelILi512ELi8ELb0EDF16_llDF16_DF16_DF16_EEv20rocsparse_operation_S1_16rocsparse_order_S2_T4_S3_S3_T3_NS_24const_host_device_scalarIT2_EEPKT5_lPKT6_lS7_PT7_PKS4_SH_21rocsparse_index_base_b
                                        ; -- End function
	.set _ZN9rocsparseL17sddmm_coox_kernelILi512ELi8ELb0EDF16_llDF16_DF16_DF16_EEv20rocsparse_operation_S1_16rocsparse_order_S2_T4_S3_S3_T3_NS_24const_host_device_scalarIT2_EEPKT5_lPKT6_lS7_PT7_PKS4_SH_21rocsparse_index_base_b.num_vgpr, 19
	.set _ZN9rocsparseL17sddmm_coox_kernelILi512ELi8ELb0EDF16_llDF16_DF16_DF16_EEv20rocsparse_operation_S1_16rocsparse_order_S2_T4_S3_S3_T3_NS_24const_host_device_scalarIT2_EEPKT5_lPKT6_lS7_PT7_PKS4_SH_21rocsparse_index_base_b.num_agpr, 0
	.set _ZN9rocsparseL17sddmm_coox_kernelILi512ELi8ELb0EDF16_llDF16_DF16_DF16_EEv20rocsparse_operation_S1_16rocsparse_order_S2_T4_S3_S3_T3_NS_24const_host_device_scalarIT2_EEPKT5_lPKT6_lS7_PT7_PKS4_SH_21rocsparse_index_base_b.numbered_sgpr, 18
	.set _ZN9rocsparseL17sddmm_coox_kernelILi512ELi8ELb0EDF16_llDF16_DF16_DF16_EEv20rocsparse_operation_S1_16rocsparse_order_S2_T4_S3_S3_T3_NS_24const_host_device_scalarIT2_EEPKT5_lPKT6_lS7_PT7_PKS4_SH_21rocsparse_index_base_b.num_named_barrier, 0
	.set _ZN9rocsparseL17sddmm_coox_kernelILi512ELi8ELb0EDF16_llDF16_DF16_DF16_EEv20rocsparse_operation_S1_16rocsparse_order_S2_T4_S3_S3_T3_NS_24const_host_device_scalarIT2_EEPKT5_lPKT6_lS7_PT7_PKS4_SH_21rocsparse_index_base_b.private_seg_size, 0
	.set _ZN9rocsparseL17sddmm_coox_kernelILi512ELi8ELb0EDF16_llDF16_DF16_DF16_EEv20rocsparse_operation_S1_16rocsparse_order_S2_T4_S3_S3_T3_NS_24const_host_device_scalarIT2_EEPKT5_lPKT6_lS7_PT7_PKS4_SH_21rocsparse_index_base_b.uses_vcc, 1
	.set _ZN9rocsparseL17sddmm_coox_kernelILi512ELi8ELb0EDF16_llDF16_DF16_DF16_EEv20rocsparse_operation_S1_16rocsparse_order_S2_T4_S3_S3_T3_NS_24const_host_device_scalarIT2_EEPKT5_lPKT6_lS7_PT7_PKS4_SH_21rocsparse_index_base_b.uses_flat_scratch, 0
	.set _ZN9rocsparseL17sddmm_coox_kernelILi512ELi8ELb0EDF16_llDF16_DF16_DF16_EEv20rocsparse_operation_S1_16rocsparse_order_S2_T4_S3_S3_T3_NS_24const_host_device_scalarIT2_EEPKT5_lPKT6_lS7_PT7_PKS4_SH_21rocsparse_index_base_b.has_dyn_sized_stack, 0
	.set _ZN9rocsparseL17sddmm_coox_kernelILi512ELi8ELb0EDF16_llDF16_DF16_DF16_EEv20rocsparse_operation_S1_16rocsparse_order_S2_T4_S3_S3_T3_NS_24const_host_device_scalarIT2_EEPKT5_lPKT6_lS7_PT7_PKS4_SH_21rocsparse_index_base_b.has_recursion, 0
	.set _ZN9rocsparseL17sddmm_coox_kernelILi512ELi8ELb0EDF16_llDF16_DF16_DF16_EEv20rocsparse_operation_S1_16rocsparse_order_S2_T4_S3_S3_T3_NS_24const_host_device_scalarIT2_EEPKT5_lPKT6_lS7_PT7_PKS4_SH_21rocsparse_index_base_b.has_indirect_call, 0
	.section	.AMDGPU.csdata,"",@progbits
; Kernel info:
; codeLenInByte = 1232
; TotalNumSgprs: 20
; NumVgprs: 19
; ScratchSize: 0
; MemoryBound: 0
; FloatMode: 240
; IeeeMode: 1
; LDSByteSize: 1024 bytes/workgroup (compile time only)
; SGPRBlocks: 0
; VGPRBlocks: 2
; NumSGPRsForWavesPerEU: 20
; NumVGPRsForWavesPerEU: 19
; Occupancy: 16
; WaveLimiterHint : 0
; COMPUTE_PGM_RSRC2:SCRATCH_EN: 0
; COMPUTE_PGM_RSRC2:USER_SGPR: 6
; COMPUTE_PGM_RSRC2:TRAP_HANDLER: 0
; COMPUTE_PGM_RSRC2:TGID_X_EN: 1
; COMPUTE_PGM_RSRC2:TGID_Y_EN: 0
; COMPUTE_PGM_RSRC2:TGID_Z_EN: 0
; COMPUTE_PGM_RSRC2:TIDIG_COMP_CNT: 0
	.section	.text._ZN9rocsparseL17sddmm_coox_kernelILi512ELi4ELb0EDF16_llDF16_DF16_DF16_EEv20rocsparse_operation_S1_16rocsparse_order_S2_T4_S3_S3_T3_NS_24const_host_device_scalarIT2_EEPKT5_lPKT6_lS7_PT7_PKS4_SH_21rocsparse_index_base_b,"axG",@progbits,_ZN9rocsparseL17sddmm_coox_kernelILi512ELi4ELb0EDF16_llDF16_DF16_DF16_EEv20rocsparse_operation_S1_16rocsparse_order_S2_T4_S3_S3_T3_NS_24const_host_device_scalarIT2_EEPKT5_lPKT6_lS7_PT7_PKS4_SH_21rocsparse_index_base_b,comdat
	.globl	_ZN9rocsparseL17sddmm_coox_kernelILi512ELi4ELb0EDF16_llDF16_DF16_DF16_EEv20rocsparse_operation_S1_16rocsparse_order_S2_T4_S3_S3_T3_NS_24const_host_device_scalarIT2_EEPKT5_lPKT6_lS7_PT7_PKS4_SH_21rocsparse_index_base_b ; -- Begin function _ZN9rocsparseL17sddmm_coox_kernelILi512ELi4ELb0EDF16_llDF16_DF16_DF16_EEv20rocsparse_operation_S1_16rocsparse_order_S2_T4_S3_S3_T3_NS_24const_host_device_scalarIT2_EEPKT5_lPKT6_lS7_PT7_PKS4_SH_21rocsparse_index_base_b
	.p2align	8
	.type	_ZN9rocsparseL17sddmm_coox_kernelILi512ELi4ELb0EDF16_llDF16_DF16_DF16_EEv20rocsparse_operation_S1_16rocsparse_order_S2_T4_S3_S3_T3_NS_24const_host_device_scalarIT2_EEPKT5_lPKT6_lS7_PT7_PKS4_SH_21rocsparse_index_base_b,@function
_ZN9rocsparseL17sddmm_coox_kernelILi512ELi4ELb0EDF16_llDF16_DF16_DF16_EEv20rocsparse_operation_S1_16rocsparse_order_S2_T4_S3_S3_T3_NS_24const_host_device_scalarIT2_EEPKT5_lPKT6_lS7_PT7_PKS4_SH_21rocsparse_index_base_b: ; @_ZN9rocsparseL17sddmm_coox_kernelILi512ELi4ELb0EDF16_llDF16_DF16_DF16_EEv20rocsparse_operation_S1_16rocsparse_order_S2_T4_S3_S3_T3_NS_24const_host_device_scalarIT2_EEPKT5_lPKT6_lS7_PT7_PKS4_SH_21rocsparse_index_base_b
; %bb.0:
	s_clause 0x2
	s_load_dwordx2 s[16:17], s[4:5], 0x78
	s_load_dwordx2 s[0:1], s[4:5], 0x30
	s_load_dwordx4 s[12:15], s[4:5], 0x50
	s_waitcnt lgkmcnt(0)
	s_bitcmp1_b32 s17, 0
	v_mov_b32_e32 v11, s0
	s_cselect_b32 s2, -1, 0
	s_and_b32 vcc_lo, exec_lo, s2
	s_xor_b32 s2, s2, -1
	s_cbranch_vccnz .LBB27_2
; %bb.1:
	v_mov_b32_e32 v1, 0
	global_load_ushort v11, v1, s[0:1]
.LBB27_2:
	v_mov_b32_e32 v12, s14
	s_andn2_b32 vcc_lo, exec_lo, s2
	s_cbranch_vccnz .LBB27_4
; %bb.3:
	v_mov_b32_e32 v1, 0
	global_load_ushort v12, v1, s[14:15]
.LBB27_4:
	s_waitcnt vmcnt(0)
	v_cmp_eq_f16_e32 vcc_lo, 0, v11
	v_cmp_eq_f16_e64 s0, 1.0, v12
	s_and_b32 s0, vcc_lo, s0
	s_and_b32 vcc_lo, exec_lo, s0
	s_cbranch_vccnz .LBB27_32
; %bb.5:
	s_load_dwordx4 s[8:11], s[4:5], 0x20
	v_lshrrev_b32_e32 v13, 2, v0
	v_mov_b32_e32 v2, 0
	s_mov_b32 s0, exec_lo
	v_lshl_or_b32 v1, s6, 7, v13
	s_waitcnt lgkmcnt(0)
	v_cmpx_gt_i64_e64 s[10:11], v[1:2]
	s_cbranch_execz .LBB27_32
; %bb.6:
	s_load_dwordx4 s[0:3], s[4:5], 0x68
	v_lshlrev_b64 v[3:4], 3, v[1:2]
	s_waitcnt lgkmcnt(0)
	v_add_co_u32 v5, vcc_lo, s0, v3
	v_add_co_ci_u32_e64 v6, null, s1, v4, vcc_lo
	v_add_co_u32 v3, vcc_lo, s2, v3
	v_add_co_ci_u32_e64 v4, null, s3, v4, vcc_lo
	global_load_dwordx2 v[7:8], v[5:6], off
	global_load_dwordx2 v[5:6], v[3:4], off
	s_clause 0x1
	s_load_dwordx4 s[0:3], s[4:5], 0x0
	s_load_dwordx2 s[6:7], s[4:5], 0x40
	s_waitcnt lgkmcnt(0)
	s_cmp_eq_u32 s2, 1
	s_cselect_b32 s10, -1, 0
	s_cmpk_eq_i32 s0, 0x6f
	s_cselect_b32 s11, -1, 0
	s_cmpk_lg_i32 s0, 0x6f
	s_cselect_b32 s0, -1, 0
	s_cmp_lg_u32 s2, 1
	s_waitcnt vmcnt(1)
	v_sub_co_u32 v7, vcc_lo, v7, s16
	v_subrev_co_ci_u32_e64 v8, null, 0, v8, vcc_lo
	s_cbranch_scc0 .LBB27_10
; %bb.7:
	v_mov_b32_e32 v3, v7
	v_mov_b32_e32 v4, v8
	s_andn2_b32 vcc_lo, exec_lo, s11
	s_cbranch_vccnz .LBB27_9
; %bb.8:
	v_mul_lo_u32 v9, v8, s6
	v_mul_lo_u32 v10, v7, s7
	v_mad_u64_u32 v[3:4], null, v7, s6, 0
	v_add3_u32 v4, v4, v10, v9
.LBB27_9:
	s_cbranch_execz .LBB27_11
	s_branch .LBB27_14
.LBB27_10:
                                        ; implicit-def: $vgpr3_vgpr4
.LBB27_11:
	s_andn2_b32 vcc_lo, exec_lo, s0
	s_cbranch_vccnz .LBB27_13
; %bb.12:
	v_mul_lo_u32 v3, v8, s6
	v_mul_lo_u32 v4, v7, s7
	v_mad_u64_u32 v[7:8], null, v7, s6, 0
	v_add3_u32 v8, v8, v4, v3
.LBB27_13:
	v_mov_b32_e32 v3, v7
	v_mov_b32_e32 v4, v8
.LBB27_14:
	s_cmp_eq_u32 s3, 1
	s_waitcnt vmcnt(0)
	v_sub_co_u32 v5, vcc_lo, v5, s16
	s_cselect_b32 s0, -1, 0
	s_cmpk_eq_i32 s1, 0x6f
	v_subrev_co_ci_u32_e64 v6, null, 0, v6, vcc_lo
	s_cselect_b32 s14, -1, 0
	s_cmpk_lg_i32 s1, 0x6f
	s_cselect_b32 s1, -1, 0
	s_cmp_lg_u32 s3, 1
	s_cbranch_scc0 .LBB27_18
; %bb.15:
	v_mov_b32_e32 v8, v6
	v_mov_b32_e32 v7, v5
	s_andn2_b32 vcc_lo, exec_lo, s1
	s_cbranch_vccnz .LBB27_17
; %bb.16:
	v_mul_lo_u32 v9, v6, s12
	v_mul_lo_u32 v10, v5, s13
	v_mad_u64_u32 v[7:8], null, v5, s12, 0
	v_add3_u32 v8, v8, v10, v9
.LBB27_17:
	s_cbranch_execz .LBB27_19
	s_branch .LBB27_22
.LBB27_18:
                                        ; implicit-def: $vgpr7_vgpr8
.LBB27_19:
	s_andn2_b32 vcc_lo, exec_lo, s14
	s_cbranch_vccnz .LBB27_21
; %bb.20:
	v_mul_lo_u32 v7, v6, s12
	v_mul_lo_u32 v8, v5, s13
	v_mad_u64_u32 v[5:6], null, v5, s12, 0
	v_add3_u32 v6, v6, v8, v7
.LBB27_21:
	v_mov_b32_e32 v8, v6
	v_mov_b32_e32 v7, v5
.LBB27_22:
	s_load_dwordx2 s[2:3], s[4:5], 0x60
	v_and_b32_e32 v5, 3, v0
	v_mov_b32_e32 v6, 0
	s_mov_b32 s1, exec_lo
	v_cmpx_gt_i64_e64 s[8:9], v[5:6]
	s_cbranch_execz .LBB27_26
; %bb.23:
	s_xor_b32 s10, s11, s10
	v_lshlrev_b64 v[7:8], 1, v[7:8]
	s_and_b32 s10, s10, exec_lo
	s_cselect_b32 s7, 0, s7
	s_cselect_b32 s6, 1, s6
	s_xor_b32 s0, s14, s0
	v_mad_u64_u32 v[9:10], null, s6, v5, 0
	s_and_b32 s0, s0, exec_lo
	s_cselect_b32 s12, s12, 1
	s_cselect_b32 s13, s13, 0
	v_mad_u64_u32 v[14:15], null, s12, v5, 0
	s_load_dwordx2 s[10:11], s[4:5], 0x38
	v_mov_b32_e32 v0, v10
	s_load_dwordx2 s[4:5], s[4:5], 0x48
	v_mov_b32_e32 v10, v15
	v_mad_u64_u32 v[15:16], null, s7, v5, v[0:1]
	v_mov_b32_e32 v0, 0
	s_lshl_b64 s[6:7], s[6:7], 3
	v_mad_u64_u32 v[16:17], null, s13, v5, v[10:11]
	v_lshlrev_b64 v[17:18], 1, v[3:4]
	v_mov_b32_e32 v3, v5
	v_mov_b32_e32 v10, v15
	;; [unrolled: 1-line block ×4, first 2 shown]
	v_lshlrev_b64 v[9:10], 1, v[9:10]
	v_lshlrev_b64 v[14:15], 1, v[14:15]
	v_add_co_u32 v6, vcc_lo, v9, v17
	v_add_co_ci_u32_e64 v9, null, v10, v18, vcc_lo
	v_add_co_u32 v10, vcc_lo, v14, v7
	v_add_co_ci_u32_e64 v14, null, v15, v8, vcc_lo
	s_waitcnt lgkmcnt(0)
	v_add_co_u32 v7, vcc_lo, s10, v6
	v_add_co_ci_u32_e64 v8, null, s11, v9, vcc_lo
	v_add_co_u32 v9, vcc_lo, s4, v10
	v_add_co_ci_u32_e64 v10, null, s5, v14, vcc_lo
	v_mov_b32_e32 v6, v0
	s_mov_b32 s10, 0
	s_lshl_b64 s[4:5], s[12:13], 3
	.p2align	6
.LBB27_24:                              ; =>This Inner Loop Header: Depth=1
	global_load_ushort v0, v[7:8], off
	global_load_ushort v14, v[9:10], off
	v_add_co_u32 v3, vcc_lo, v3, 4
	v_add_co_ci_u32_e64 v4, null, 0, v4, vcc_lo
	v_add_co_u32 v9, vcc_lo, v9, s4
	v_add_co_ci_u32_e64 v10, null, s5, v10, vcc_lo
	v_cmp_le_i64_e32 vcc_lo, s[8:9], v[3:4]
	v_add_co_u32 v7, s0, v7, s6
	v_add_co_ci_u32_e64 v8, null, s7, v8, s0
	s_or_b32 s10, vcc_lo, s10
	s_waitcnt vmcnt(0)
	v_fmac_f16_e32 v6, v0, v14
	s_andn2_b32 exec_lo, exec_lo, s10
	s_cbranch_execnz .LBB27_24
; %bb.25:
	s_or_b32 exec_lo, exec_lo, s10
.LBB27_26:
	s_or_b32 exec_lo, exec_lo, s1
	v_lshlrev_b32_e32 v0, 3, v13
	s_mov_b32 s0, exec_lo
	v_lshl_or_b32 v3, v5, 1, v0
	ds_write_b16 v3, v6
	s_waitcnt lgkmcnt(0)
	s_barrier
	buffer_gl0_inv
	v_cmpx_gt_u32_e32 2, v5
	s_cbranch_execz .LBB27_28
; %bb.27:
	ds_read_u16 v4, v3
	ds_read_u16 v6, v3 offset:4
	s_waitcnt lgkmcnt(0)
	v_add_f16_e32 v4, v6, v4
	ds_write_b16 v3, v4
.LBB27_28:
	s_or_b32 exec_lo, exec_lo, s0
	v_cmp_eq_u32_e32 vcc_lo, 0, v5
	s_waitcnt lgkmcnt(0)
	s_barrier
	buffer_gl0_inv
	s_and_saveexec_b32 s0, vcc_lo
	s_cbranch_execz .LBB27_30
; %bb.29:
	ds_read_u16 v4, v3
	ds_read_u16 v5, v3 offset:2
	s_waitcnt lgkmcnt(0)
	v_add_f16_e32 v4, v5, v4
	ds_write_b16 v3, v4
.LBB27_30:
	s_or_b32 exec_lo, exec_lo, s0
	s_waitcnt lgkmcnt(0)
	s_barrier
	buffer_gl0_inv
	s_and_b32 exec_lo, exec_lo, vcc_lo
	s_cbranch_execz .LBB27_32
; %bb.31:
	v_lshlrev_b64 v[1:2], 1, v[1:2]
	ds_read_u16 v0, v0
	v_add_co_u32 v1, vcc_lo, s2, v1
	v_add_co_ci_u32_e64 v2, null, s3, v2, vcc_lo
	global_load_ushort v3, v[1:2], off
	s_waitcnt lgkmcnt(0)
	v_mul_f16_e32 v0, v11, v0
	s_waitcnt vmcnt(0)
	v_fmac_f16_e32 v0, v12, v3
	global_store_short v[1:2], v0, off
.LBB27_32:
	s_endpgm
	.section	.rodata,"a",@progbits
	.p2align	6, 0x0
	.amdhsa_kernel _ZN9rocsparseL17sddmm_coox_kernelILi512ELi4ELb0EDF16_llDF16_DF16_DF16_EEv20rocsparse_operation_S1_16rocsparse_order_S2_T4_S3_S3_T3_NS_24const_host_device_scalarIT2_EEPKT5_lPKT6_lS7_PT7_PKS4_SH_21rocsparse_index_base_b
		.amdhsa_group_segment_fixed_size 1024
		.amdhsa_private_segment_fixed_size 0
		.amdhsa_kernarg_size 128
		.amdhsa_user_sgpr_count 6
		.amdhsa_user_sgpr_private_segment_buffer 1
		.amdhsa_user_sgpr_dispatch_ptr 0
		.amdhsa_user_sgpr_queue_ptr 0
		.amdhsa_user_sgpr_kernarg_segment_ptr 1
		.amdhsa_user_sgpr_dispatch_id 0
		.amdhsa_user_sgpr_flat_scratch_init 0
		.amdhsa_user_sgpr_private_segment_size 0
		.amdhsa_wavefront_size32 1
		.amdhsa_uses_dynamic_stack 0
		.amdhsa_system_sgpr_private_segment_wavefront_offset 0
		.amdhsa_system_sgpr_workgroup_id_x 1
		.amdhsa_system_sgpr_workgroup_id_y 0
		.amdhsa_system_sgpr_workgroup_id_z 0
		.amdhsa_system_sgpr_workgroup_info 0
		.amdhsa_system_vgpr_workitem_id 0
		.amdhsa_next_free_vgpr 19
		.amdhsa_next_free_sgpr 18
		.amdhsa_reserve_vcc 1
		.amdhsa_reserve_flat_scratch 0
		.amdhsa_float_round_mode_32 0
		.amdhsa_float_round_mode_16_64 0
		.amdhsa_float_denorm_mode_32 3
		.amdhsa_float_denorm_mode_16_64 3
		.amdhsa_dx10_clamp 1
		.amdhsa_ieee_mode 1
		.amdhsa_fp16_overflow 0
		.amdhsa_workgroup_processor_mode 1
		.amdhsa_memory_ordered 1
		.amdhsa_forward_progress 1
		.amdhsa_shared_vgpr_count 0
		.amdhsa_exception_fp_ieee_invalid_op 0
		.amdhsa_exception_fp_denorm_src 0
		.amdhsa_exception_fp_ieee_div_zero 0
		.amdhsa_exception_fp_ieee_overflow 0
		.amdhsa_exception_fp_ieee_underflow 0
		.amdhsa_exception_fp_ieee_inexact 0
		.amdhsa_exception_int_div_zero 0
	.end_amdhsa_kernel
	.section	.text._ZN9rocsparseL17sddmm_coox_kernelILi512ELi4ELb0EDF16_llDF16_DF16_DF16_EEv20rocsparse_operation_S1_16rocsparse_order_S2_T4_S3_S3_T3_NS_24const_host_device_scalarIT2_EEPKT5_lPKT6_lS7_PT7_PKS4_SH_21rocsparse_index_base_b,"axG",@progbits,_ZN9rocsparseL17sddmm_coox_kernelILi512ELi4ELb0EDF16_llDF16_DF16_DF16_EEv20rocsparse_operation_S1_16rocsparse_order_S2_T4_S3_S3_T3_NS_24const_host_device_scalarIT2_EEPKT5_lPKT6_lS7_PT7_PKS4_SH_21rocsparse_index_base_b,comdat
.Lfunc_end27:
	.size	_ZN9rocsparseL17sddmm_coox_kernelILi512ELi4ELb0EDF16_llDF16_DF16_DF16_EEv20rocsparse_operation_S1_16rocsparse_order_S2_T4_S3_S3_T3_NS_24const_host_device_scalarIT2_EEPKT5_lPKT6_lS7_PT7_PKS4_SH_21rocsparse_index_base_b, .Lfunc_end27-_ZN9rocsparseL17sddmm_coox_kernelILi512ELi4ELb0EDF16_llDF16_DF16_DF16_EEv20rocsparse_operation_S1_16rocsparse_order_S2_T4_S3_S3_T3_NS_24const_host_device_scalarIT2_EEPKT5_lPKT6_lS7_PT7_PKS4_SH_21rocsparse_index_base_b
                                        ; -- End function
	.set _ZN9rocsparseL17sddmm_coox_kernelILi512ELi4ELb0EDF16_llDF16_DF16_DF16_EEv20rocsparse_operation_S1_16rocsparse_order_S2_T4_S3_S3_T3_NS_24const_host_device_scalarIT2_EEPKT5_lPKT6_lS7_PT7_PKS4_SH_21rocsparse_index_base_b.num_vgpr, 19
	.set _ZN9rocsparseL17sddmm_coox_kernelILi512ELi4ELb0EDF16_llDF16_DF16_DF16_EEv20rocsparse_operation_S1_16rocsparse_order_S2_T4_S3_S3_T3_NS_24const_host_device_scalarIT2_EEPKT5_lPKT6_lS7_PT7_PKS4_SH_21rocsparse_index_base_b.num_agpr, 0
	.set _ZN9rocsparseL17sddmm_coox_kernelILi512ELi4ELb0EDF16_llDF16_DF16_DF16_EEv20rocsparse_operation_S1_16rocsparse_order_S2_T4_S3_S3_T3_NS_24const_host_device_scalarIT2_EEPKT5_lPKT6_lS7_PT7_PKS4_SH_21rocsparse_index_base_b.numbered_sgpr, 18
	.set _ZN9rocsparseL17sddmm_coox_kernelILi512ELi4ELb0EDF16_llDF16_DF16_DF16_EEv20rocsparse_operation_S1_16rocsparse_order_S2_T4_S3_S3_T3_NS_24const_host_device_scalarIT2_EEPKT5_lPKT6_lS7_PT7_PKS4_SH_21rocsparse_index_base_b.num_named_barrier, 0
	.set _ZN9rocsparseL17sddmm_coox_kernelILi512ELi4ELb0EDF16_llDF16_DF16_DF16_EEv20rocsparse_operation_S1_16rocsparse_order_S2_T4_S3_S3_T3_NS_24const_host_device_scalarIT2_EEPKT5_lPKT6_lS7_PT7_PKS4_SH_21rocsparse_index_base_b.private_seg_size, 0
	.set _ZN9rocsparseL17sddmm_coox_kernelILi512ELi4ELb0EDF16_llDF16_DF16_DF16_EEv20rocsparse_operation_S1_16rocsparse_order_S2_T4_S3_S3_T3_NS_24const_host_device_scalarIT2_EEPKT5_lPKT6_lS7_PT7_PKS4_SH_21rocsparse_index_base_b.uses_vcc, 1
	.set _ZN9rocsparseL17sddmm_coox_kernelILi512ELi4ELb0EDF16_llDF16_DF16_DF16_EEv20rocsparse_operation_S1_16rocsparse_order_S2_T4_S3_S3_T3_NS_24const_host_device_scalarIT2_EEPKT5_lPKT6_lS7_PT7_PKS4_SH_21rocsparse_index_base_b.uses_flat_scratch, 0
	.set _ZN9rocsparseL17sddmm_coox_kernelILi512ELi4ELb0EDF16_llDF16_DF16_DF16_EEv20rocsparse_operation_S1_16rocsparse_order_S2_T4_S3_S3_T3_NS_24const_host_device_scalarIT2_EEPKT5_lPKT6_lS7_PT7_PKS4_SH_21rocsparse_index_base_b.has_dyn_sized_stack, 0
	.set _ZN9rocsparseL17sddmm_coox_kernelILi512ELi4ELb0EDF16_llDF16_DF16_DF16_EEv20rocsparse_operation_S1_16rocsparse_order_S2_T4_S3_S3_T3_NS_24const_host_device_scalarIT2_EEPKT5_lPKT6_lS7_PT7_PKS4_SH_21rocsparse_index_base_b.has_recursion, 0
	.set _ZN9rocsparseL17sddmm_coox_kernelILi512ELi4ELb0EDF16_llDF16_DF16_DF16_EEv20rocsparse_operation_S1_16rocsparse_order_S2_T4_S3_S3_T3_NS_24const_host_device_scalarIT2_EEPKT5_lPKT6_lS7_PT7_PKS4_SH_21rocsparse_index_base_b.has_indirect_call, 0
	.section	.AMDGPU.csdata,"",@progbits
; Kernel info:
; codeLenInByte = 1168
; TotalNumSgprs: 20
; NumVgprs: 19
; ScratchSize: 0
; MemoryBound: 0
; FloatMode: 240
; IeeeMode: 1
; LDSByteSize: 1024 bytes/workgroup (compile time only)
; SGPRBlocks: 0
; VGPRBlocks: 2
; NumSGPRsForWavesPerEU: 20
; NumVGPRsForWavesPerEU: 19
; Occupancy: 16
; WaveLimiterHint : 0
; COMPUTE_PGM_RSRC2:SCRATCH_EN: 0
; COMPUTE_PGM_RSRC2:USER_SGPR: 6
; COMPUTE_PGM_RSRC2:TRAP_HANDLER: 0
; COMPUTE_PGM_RSRC2:TGID_X_EN: 1
; COMPUTE_PGM_RSRC2:TGID_Y_EN: 0
; COMPUTE_PGM_RSRC2:TGID_Z_EN: 0
; COMPUTE_PGM_RSRC2:TIDIG_COMP_CNT: 0
	.section	.text._ZN9rocsparseL17sddmm_coox_kernelILi512ELi2ELb0EDF16_llDF16_DF16_DF16_EEv20rocsparse_operation_S1_16rocsparse_order_S2_T4_S3_S3_T3_NS_24const_host_device_scalarIT2_EEPKT5_lPKT6_lS7_PT7_PKS4_SH_21rocsparse_index_base_b,"axG",@progbits,_ZN9rocsparseL17sddmm_coox_kernelILi512ELi2ELb0EDF16_llDF16_DF16_DF16_EEv20rocsparse_operation_S1_16rocsparse_order_S2_T4_S3_S3_T3_NS_24const_host_device_scalarIT2_EEPKT5_lPKT6_lS7_PT7_PKS4_SH_21rocsparse_index_base_b,comdat
	.globl	_ZN9rocsparseL17sddmm_coox_kernelILi512ELi2ELb0EDF16_llDF16_DF16_DF16_EEv20rocsparse_operation_S1_16rocsparse_order_S2_T4_S3_S3_T3_NS_24const_host_device_scalarIT2_EEPKT5_lPKT6_lS7_PT7_PKS4_SH_21rocsparse_index_base_b ; -- Begin function _ZN9rocsparseL17sddmm_coox_kernelILi512ELi2ELb0EDF16_llDF16_DF16_DF16_EEv20rocsparse_operation_S1_16rocsparse_order_S2_T4_S3_S3_T3_NS_24const_host_device_scalarIT2_EEPKT5_lPKT6_lS7_PT7_PKS4_SH_21rocsparse_index_base_b
	.p2align	8
	.type	_ZN9rocsparseL17sddmm_coox_kernelILi512ELi2ELb0EDF16_llDF16_DF16_DF16_EEv20rocsparse_operation_S1_16rocsparse_order_S2_T4_S3_S3_T3_NS_24const_host_device_scalarIT2_EEPKT5_lPKT6_lS7_PT7_PKS4_SH_21rocsparse_index_base_b,@function
_ZN9rocsparseL17sddmm_coox_kernelILi512ELi2ELb0EDF16_llDF16_DF16_DF16_EEv20rocsparse_operation_S1_16rocsparse_order_S2_T4_S3_S3_T3_NS_24const_host_device_scalarIT2_EEPKT5_lPKT6_lS7_PT7_PKS4_SH_21rocsparse_index_base_b: ; @_ZN9rocsparseL17sddmm_coox_kernelILi512ELi2ELb0EDF16_llDF16_DF16_DF16_EEv20rocsparse_operation_S1_16rocsparse_order_S2_T4_S3_S3_T3_NS_24const_host_device_scalarIT2_EEPKT5_lPKT6_lS7_PT7_PKS4_SH_21rocsparse_index_base_b
; %bb.0:
	s_clause 0x2
	s_load_dwordx2 s[16:17], s[4:5], 0x78
	s_load_dwordx2 s[0:1], s[4:5], 0x30
	s_load_dwordx4 s[12:15], s[4:5], 0x50
	s_waitcnt lgkmcnt(0)
	s_bitcmp1_b32 s17, 0
	v_mov_b32_e32 v11, s0
	s_cselect_b32 s2, -1, 0
	s_and_b32 vcc_lo, exec_lo, s2
	s_xor_b32 s2, s2, -1
	s_cbranch_vccnz .LBB28_2
; %bb.1:
	v_mov_b32_e32 v1, 0
	global_load_ushort v11, v1, s[0:1]
.LBB28_2:
	v_mov_b32_e32 v12, s14
	s_andn2_b32 vcc_lo, exec_lo, s2
	s_cbranch_vccnz .LBB28_4
; %bb.3:
	v_mov_b32_e32 v1, 0
	global_load_ushort v12, v1, s[14:15]
.LBB28_4:
	s_waitcnt vmcnt(0)
	v_cmp_eq_f16_e32 vcc_lo, 0, v11
	v_cmp_eq_f16_e64 s0, 1.0, v12
	s_and_b32 s0, vcc_lo, s0
	s_and_b32 vcc_lo, exec_lo, s0
	s_cbranch_vccnz .LBB28_30
; %bb.5:
	s_load_dwordx4 s[8:11], s[4:5], 0x20
	v_lshrrev_b32_e32 v13, 1, v0
	v_mov_b32_e32 v2, 0
	s_mov_b32 s0, exec_lo
	v_lshl_or_b32 v1, s6, 8, v13
	s_waitcnt lgkmcnt(0)
	v_cmpx_gt_i64_e64 s[10:11], v[1:2]
	s_cbranch_execz .LBB28_30
; %bb.6:
	s_load_dwordx4 s[0:3], s[4:5], 0x68
	v_lshlrev_b64 v[3:4], 3, v[1:2]
	s_waitcnt lgkmcnt(0)
	v_add_co_u32 v5, vcc_lo, s0, v3
	v_add_co_ci_u32_e64 v6, null, s1, v4, vcc_lo
	v_add_co_u32 v3, vcc_lo, s2, v3
	v_add_co_ci_u32_e64 v4, null, s3, v4, vcc_lo
	global_load_dwordx2 v[7:8], v[5:6], off
	global_load_dwordx2 v[5:6], v[3:4], off
	s_clause 0x1
	s_load_dwordx4 s[0:3], s[4:5], 0x0
	s_load_dwordx2 s[6:7], s[4:5], 0x40
	s_waitcnt lgkmcnt(0)
	s_cmp_eq_u32 s2, 1
	s_cselect_b32 s10, -1, 0
	s_cmpk_eq_i32 s0, 0x6f
	s_cselect_b32 s11, -1, 0
	s_cmpk_lg_i32 s0, 0x6f
	s_cselect_b32 s0, -1, 0
	s_cmp_lg_u32 s2, 1
	s_waitcnt vmcnt(1)
	v_sub_co_u32 v7, vcc_lo, v7, s16
	v_subrev_co_ci_u32_e64 v8, null, 0, v8, vcc_lo
	s_cbranch_scc0 .LBB28_10
; %bb.7:
	v_mov_b32_e32 v3, v7
	v_mov_b32_e32 v4, v8
	s_andn2_b32 vcc_lo, exec_lo, s11
	s_cbranch_vccnz .LBB28_9
; %bb.8:
	v_mul_lo_u32 v9, v8, s6
	v_mul_lo_u32 v10, v7, s7
	v_mad_u64_u32 v[3:4], null, v7, s6, 0
	v_add3_u32 v4, v4, v10, v9
.LBB28_9:
	s_cbranch_execz .LBB28_11
	s_branch .LBB28_14
.LBB28_10:
                                        ; implicit-def: $vgpr3_vgpr4
.LBB28_11:
	s_andn2_b32 vcc_lo, exec_lo, s0
	s_cbranch_vccnz .LBB28_13
; %bb.12:
	v_mul_lo_u32 v3, v8, s6
	v_mul_lo_u32 v4, v7, s7
	v_mad_u64_u32 v[7:8], null, v7, s6, 0
	v_add3_u32 v8, v8, v4, v3
.LBB28_13:
	v_mov_b32_e32 v3, v7
	v_mov_b32_e32 v4, v8
.LBB28_14:
	s_cmp_eq_u32 s3, 1
	s_waitcnt vmcnt(0)
	v_sub_co_u32 v5, vcc_lo, v5, s16
	s_cselect_b32 s0, -1, 0
	s_cmpk_eq_i32 s1, 0x6f
	v_subrev_co_ci_u32_e64 v6, null, 0, v6, vcc_lo
	s_cselect_b32 s14, -1, 0
	s_cmpk_lg_i32 s1, 0x6f
	s_cselect_b32 s1, -1, 0
	s_cmp_lg_u32 s3, 1
	s_cbranch_scc0 .LBB28_18
; %bb.15:
	v_mov_b32_e32 v8, v6
	v_mov_b32_e32 v7, v5
	s_andn2_b32 vcc_lo, exec_lo, s1
	s_cbranch_vccnz .LBB28_17
; %bb.16:
	v_mul_lo_u32 v9, v6, s12
	v_mul_lo_u32 v10, v5, s13
	v_mad_u64_u32 v[7:8], null, v5, s12, 0
	v_add3_u32 v8, v8, v10, v9
.LBB28_17:
	s_cbranch_execz .LBB28_19
	s_branch .LBB28_22
.LBB28_18:
                                        ; implicit-def: $vgpr7_vgpr8
.LBB28_19:
	s_andn2_b32 vcc_lo, exec_lo, s14
	s_cbranch_vccnz .LBB28_21
; %bb.20:
	v_mul_lo_u32 v7, v6, s12
	v_mul_lo_u32 v8, v5, s13
	v_mad_u64_u32 v[5:6], null, v5, s12, 0
	v_add3_u32 v6, v6, v8, v7
.LBB28_21:
	v_mov_b32_e32 v8, v6
	v_mov_b32_e32 v7, v5
.LBB28_22:
	s_load_dwordx2 s[2:3], s[4:5], 0x60
	v_and_b32_e32 v5, 1, v0
	v_mov_b32_e32 v6, 0
	s_mov_b32 s1, exec_lo
	v_cmpx_gt_i64_e64 s[8:9], v[5:6]
	s_cbranch_execz .LBB28_26
; %bb.23:
	s_xor_b32 s10, s11, s10
	v_lshlrev_b64 v[7:8], 1, v[7:8]
	s_and_b32 s10, s10, exec_lo
	s_cselect_b32 s7, 0, s7
	s_cselect_b32 s6, 1, s6
	s_xor_b32 s0, s14, s0
	s_load_dwordx2 s[10:11], s[4:5], 0x48
	s_and_b32 s0, s0, exec_lo
	s_cselect_b32 s13, s13, 0
	s_cselect_b32 s12, s12, 1
	v_mul_lo_u32 v10, s13, v5
	v_mul_lo_u32 v9, s12, v5
	s_load_dwordx2 s[4:5], s[4:5], 0x38
	v_mul_lo_u32 v15, s7, v5
	v_mul_lo_u32 v14, s6, v5
	v_lshlrev_b64 v[16:17], 1, v[3:4]
	s_lshl_b64 s[6:7], s[6:7], 2
	v_lshlrev_b64 v[9:10], 1, v[9:10]
	v_add_co_u32 v0, vcc_lo, v9, v7
	v_add_co_ci_u32_e64 v4, null, v10, v8, vcc_lo
	v_lshlrev_b64 v[7:8], 1, v[14:15]
	s_waitcnt lgkmcnt(0)
	v_add_co_u32 v3, vcc_lo, s10, v0
	v_add_co_ci_u32_e64 v4, null, s11, v4, vcc_lo
	v_mov_b32_e32 v14, 0
	v_add_co_u32 v0, vcc_lo, v7, v16
	v_add_co_ci_u32_e64 v8, null, v8, v17, vcc_lo
	v_mov_b32_e32 v10, v6
	;; [unrolled: 3-line block ×3, first 2 shown]
	v_mov_b32_e32 v6, v14
	s_mov_b32 s10, 0
	s_lshl_b64 s[4:5], s[12:13], 2
	.p2align	6
.LBB28_24:                              ; =>This Inner Loop Header: Depth=1
	global_load_ushort v0, v[7:8], off
	global_load_ushort v14, v[3:4], off
	v_add_co_u32 v9, vcc_lo, v9, 2
	v_add_co_ci_u32_e64 v10, null, 0, v10, vcc_lo
	v_add_co_u32 v3, vcc_lo, v3, s4
	v_add_co_ci_u32_e64 v4, null, s5, v4, vcc_lo
	v_cmp_le_i64_e32 vcc_lo, s[8:9], v[9:10]
	v_add_co_u32 v7, s0, v7, s6
	v_add_co_ci_u32_e64 v8, null, s7, v8, s0
	s_or_b32 s10, vcc_lo, s10
	s_waitcnt vmcnt(0)
	v_fmac_f16_e32 v6, v0, v14
	s_andn2_b32 exec_lo, exec_lo, s10
	s_cbranch_execnz .LBB28_24
; %bb.25:
	s_or_b32 exec_lo, exec_lo, s10
.LBB28_26:
	s_or_b32 exec_lo, exec_lo, s1
	v_lshlrev_b32_e32 v0, 2, v13
	v_cmp_eq_u32_e32 vcc_lo, 0, v5
	v_lshl_or_b32 v3, v5, 1, v0
	ds_write_b16 v3, v6
	s_waitcnt lgkmcnt(0)
	s_barrier
	buffer_gl0_inv
	s_and_saveexec_b32 s0, vcc_lo
	s_cbranch_execz .LBB28_28
; %bb.27:
	ds_read_u16 v4, v0 offset:2
	ds_read_u16 v5, v3
	s_waitcnt lgkmcnt(0)
	v_add_f16_e32 v4, v4, v5
	ds_write_b16 v3, v4
.LBB28_28:
	s_or_b32 exec_lo, exec_lo, s0
	s_waitcnt lgkmcnt(0)
	s_barrier
	buffer_gl0_inv
	s_and_b32 exec_lo, exec_lo, vcc_lo
	s_cbranch_execz .LBB28_30
; %bb.29:
	v_lshlrev_b64 v[1:2], 1, v[1:2]
	ds_read_u16 v0, v0
	v_add_co_u32 v1, vcc_lo, s2, v1
	v_add_co_ci_u32_e64 v2, null, s3, v2, vcc_lo
	global_load_ushort v3, v[1:2], off
	s_waitcnt lgkmcnt(0)
	v_mul_f16_e32 v0, v11, v0
	s_waitcnt vmcnt(0)
	v_fmac_f16_e32 v0, v12, v3
	global_store_short v[1:2], v0, off
.LBB28_30:
	s_endpgm
	.section	.rodata,"a",@progbits
	.p2align	6, 0x0
	.amdhsa_kernel _ZN9rocsparseL17sddmm_coox_kernelILi512ELi2ELb0EDF16_llDF16_DF16_DF16_EEv20rocsparse_operation_S1_16rocsparse_order_S2_T4_S3_S3_T3_NS_24const_host_device_scalarIT2_EEPKT5_lPKT6_lS7_PT7_PKS4_SH_21rocsparse_index_base_b
		.amdhsa_group_segment_fixed_size 1024
		.amdhsa_private_segment_fixed_size 0
		.amdhsa_kernarg_size 128
		.amdhsa_user_sgpr_count 6
		.amdhsa_user_sgpr_private_segment_buffer 1
		.amdhsa_user_sgpr_dispatch_ptr 0
		.amdhsa_user_sgpr_queue_ptr 0
		.amdhsa_user_sgpr_kernarg_segment_ptr 1
		.amdhsa_user_sgpr_dispatch_id 0
		.amdhsa_user_sgpr_flat_scratch_init 0
		.amdhsa_user_sgpr_private_segment_size 0
		.amdhsa_wavefront_size32 1
		.amdhsa_uses_dynamic_stack 0
		.amdhsa_system_sgpr_private_segment_wavefront_offset 0
		.amdhsa_system_sgpr_workgroup_id_x 1
		.amdhsa_system_sgpr_workgroup_id_y 0
		.amdhsa_system_sgpr_workgroup_id_z 0
		.amdhsa_system_sgpr_workgroup_info 0
		.amdhsa_system_vgpr_workitem_id 0
		.amdhsa_next_free_vgpr 18
		.amdhsa_next_free_sgpr 18
		.amdhsa_reserve_vcc 1
		.amdhsa_reserve_flat_scratch 0
		.amdhsa_float_round_mode_32 0
		.amdhsa_float_round_mode_16_64 0
		.amdhsa_float_denorm_mode_32 3
		.amdhsa_float_denorm_mode_16_64 3
		.amdhsa_dx10_clamp 1
		.amdhsa_ieee_mode 1
		.amdhsa_fp16_overflow 0
		.amdhsa_workgroup_processor_mode 1
		.amdhsa_memory_ordered 1
		.amdhsa_forward_progress 1
		.amdhsa_shared_vgpr_count 0
		.amdhsa_exception_fp_ieee_invalid_op 0
		.amdhsa_exception_fp_denorm_src 0
		.amdhsa_exception_fp_ieee_div_zero 0
		.amdhsa_exception_fp_ieee_overflow 0
		.amdhsa_exception_fp_ieee_underflow 0
		.amdhsa_exception_fp_ieee_inexact 0
		.amdhsa_exception_int_div_zero 0
	.end_amdhsa_kernel
	.section	.text._ZN9rocsparseL17sddmm_coox_kernelILi512ELi2ELb0EDF16_llDF16_DF16_DF16_EEv20rocsparse_operation_S1_16rocsparse_order_S2_T4_S3_S3_T3_NS_24const_host_device_scalarIT2_EEPKT5_lPKT6_lS7_PT7_PKS4_SH_21rocsparse_index_base_b,"axG",@progbits,_ZN9rocsparseL17sddmm_coox_kernelILi512ELi2ELb0EDF16_llDF16_DF16_DF16_EEv20rocsparse_operation_S1_16rocsparse_order_S2_T4_S3_S3_T3_NS_24const_host_device_scalarIT2_EEPKT5_lPKT6_lS7_PT7_PKS4_SH_21rocsparse_index_base_b,comdat
.Lfunc_end28:
	.size	_ZN9rocsparseL17sddmm_coox_kernelILi512ELi2ELb0EDF16_llDF16_DF16_DF16_EEv20rocsparse_operation_S1_16rocsparse_order_S2_T4_S3_S3_T3_NS_24const_host_device_scalarIT2_EEPKT5_lPKT6_lS7_PT7_PKS4_SH_21rocsparse_index_base_b, .Lfunc_end28-_ZN9rocsparseL17sddmm_coox_kernelILi512ELi2ELb0EDF16_llDF16_DF16_DF16_EEv20rocsparse_operation_S1_16rocsparse_order_S2_T4_S3_S3_T3_NS_24const_host_device_scalarIT2_EEPKT5_lPKT6_lS7_PT7_PKS4_SH_21rocsparse_index_base_b
                                        ; -- End function
	.set _ZN9rocsparseL17sddmm_coox_kernelILi512ELi2ELb0EDF16_llDF16_DF16_DF16_EEv20rocsparse_operation_S1_16rocsparse_order_S2_T4_S3_S3_T3_NS_24const_host_device_scalarIT2_EEPKT5_lPKT6_lS7_PT7_PKS4_SH_21rocsparse_index_base_b.num_vgpr, 18
	.set _ZN9rocsparseL17sddmm_coox_kernelILi512ELi2ELb0EDF16_llDF16_DF16_DF16_EEv20rocsparse_operation_S1_16rocsparse_order_S2_T4_S3_S3_T3_NS_24const_host_device_scalarIT2_EEPKT5_lPKT6_lS7_PT7_PKS4_SH_21rocsparse_index_base_b.num_agpr, 0
	.set _ZN9rocsparseL17sddmm_coox_kernelILi512ELi2ELb0EDF16_llDF16_DF16_DF16_EEv20rocsparse_operation_S1_16rocsparse_order_S2_T4_S3_S3_T3_NS_24const_host_device_scalarIT2_EEPKT5_lPKT6_lS7_PT7_PKS4_SH_21rocsparse_index_base_b.numbered_sgpr, 18
	.set _ZN9rocsparseL17sddmm_coox_kernelILi512ELi2ELb0EDF16_llDF16_DF16_DF16_EEv20rocsparse_operation_S1_16rocsparse_order_S2_T4_S3_S3_T3_NS_24const_host_device_scalarIT2_EEPKT5_lPKT6_lS7_PT7_PKS4_SH_21rocsparse_index_base_b.num_named_barrier, 0
	.set _ZN9rocsparseL17sddmm_coox_kernelILi512ELi2ELb0EDF16_llDF16_DF16_DF16_EEv20rocsparse_operation_S1_16rocsparse_order_S2_T4_S3_S3_T3_NS_24const_host_device_scalarIT2_EEPKT5_lPKT6_lS7_PT7_PKS4_SH_21rocsparse_index_base_b.private_seg_size, 0
	.set _ZN9rocsparseL17sddmm_coox_kernelILi512ELi2ELb0EDF16_llDF16_DF16_DF16_EEv20rocsparse_operation_S1_16rocsparse_order_S2_T4_S3_S3_T3_NS_24const_host_device_scalarIT2_EEPKT5_lPKT6_lS7_PT7_PKS4_SH_21rocsparse_index_base_b.uses_vcc, 1
	.set _ZN9rocsparseL17sddmm_coox_kernelILi512ELi2ELb0EDF16_llDF16_DF16_DF16_EEv20rocsparse_operation_S1_16rocsparse_order_S2_T4_S3_S3_T3_NS_24const_host_device_scalarIT2_EEPKT5_lPKT6_lS7_PT7_PKS4_SH_21rocsparse_index_base_b.uses_flat_scratch, 0
	.set _ZN9rocsparseL17sddmm_coox_kernelILi512ELi2ELb0EDF16_llDF16_DF16_DF16_EEv20rocsparse_operation_S1_16rocsparse_order_S2_T4_S3_S3_T3_NS_24const_host_device_scalarIT2_EEPKT5_lPKT6_lS7_PT7_PKS4_SH_21rocsparse_index_base_b.has_dyn_sized_stack, 0
	.set _ZN9rocsparseL17sddmm_coox_kernelILi512ELi2ELb0EDF16_llDF16_DF16_DF16_EEv20rocsparse_operation_S1_16rocsparse_order_S2_T4_S3_S3_T3_NS_24const_host_device_scalarIT2_EEPKT5_lPKT6_lS7_PT7_PKS4_SH_21rocsparse_index_base_b.has_recursion, 0
	.set _ZN9rocsparseL17sddmm_coox_kernelILi512ELi2ELb0EDF16_llDF16_DF16_DF16_EEv20rocsparse_operation_S1_16rocsparse_order_S2_T4_S3_S3_T3_NS_24const_host_device_scalarIT2_EEPKT5_lPKT6_lS7_PT7_PKS4_SH_21rocsparse_index_base_b.has_indirect_call, 0
	.section	.AMDGPU.csdata,"",@progbits
; Kernel info:
; codeLenInByte = 1104
; TotalNumSgprs: 20
; NumVgprs: 18
; ScratchSize: 0
; MemoryBound: 0
; FloatMode: 240
; IeeeMode: 1
; LDSByteSize: 1024 bytes/workgroup (compile time only)
; SGPRBlocks: 0
; VGPRBlocks: 2
; NumSGPRsForWavesPerEU: 20
; NumVGPRsForWavesPerEU: 18
; Occupancy: 16
; WaveLimiterHint : 0
; COMPUTE_PGM_RSRC2:SCRATCH_EN: 0
; COMPUTE_PGM_RSRC2:USER_SGPR: 6
; COMPUTE_PGM_RSRC2:TRAP_HANDLER: 0
; COMPUTE_PGM_RSRC2:TGID_X_EN: 1
; COMPUTE_PGM_RSRC2:TGID_Y_EN: 0
; COMPUTE_PGM_RSRC2:TGID_Z_EN: 0
; COMPUTE_PGM_RSRC2:TIDIG_COMP_CNT: 0
	.section	.text._ZN9rocsparseL17sddmm_coox_kernelILi512ELi1ELb0EDF16_llDF16_DF16_DF16_EEv20rocsparse_operation_S1_16rocsparse_order_S2_T4_S3_S3_T3_NS_24const_host_device_scalarIT2_EEPKT5_lPKT6_lS7_PT7_PKS4_SH_21rocsparse_index_base_b,"axG",@progbits,_ZN9rocsparseL17sddmm_coox_kernelILi512ELi1ELb0EDF16_llDF16_DF16_DF16_EEv20rocsparse_operation_S1_16rocsparse_order_S2_T4_S3_S3_T3_NS_24const_host_device_scalarIT2_EEPKT5_lPKT6_lS7_PT7_PKS4_SH_21rocsparse_index_base_b,comdat
	.globl	_ZN9rocsparseL17sddmm_coox_kernelILi512ELi1ELb0EDF16_llDF16_DF16_DF16_EEv20rocsparse_operation_S1_16rocsparse_order_S2_T4_S3_S3_T3_NS_24const_host_device_scalarIT2_EEPKT5_lPKT6_lS7_PT7_PKS4_SH_21rocsparse_index_base_b ; -- Begin function _ZN9rocsparseL17sddmm_coox_kernelILi512ELi1ELb0EDF16_llDF16_DF16_DF16_EEv20rocsparse_operation_S1_16rocsparse_order_S2_T4_S3_S3_T3_NS_24const_host_device_scalarIT2_EEPKT5_lPKT6_lS7_PT7_PKS4_SH_21rocsparse_index_base_b
	.p2align	8
	.type	_ZN9rocsparseL17sddmm_coox_kernelILi512ELi1ELb0EDF16_llDF16_DF16_DF16_EEv20rocsparse_operation_S1_16rocsparse_order_S2_T4_S3_S3_T3_NS_24const_host_device_scalarIT2_EEPKT5_lPKT6_lS7_PT7_PKS4_SH_21rocsparse_index_base_b,@function
_ZN9rocsparseL17sddmm_coox_kernelILi512ELi1ELb0EDF16_llDF16_DF16_DF16_EEv20rocsparse_operation_S1_16rocsparse_order_S2_T4_S3_S3_T3_NS_24const_host_device_scalarIT2_EEPKT5_lPKT6_lS7_PT7_PKS4_SH_21rocsparse_index_base_b: ; @_ZN9rocsparseL17sddmm_coox_kernelILi512ELi1ELb0EDF16_llDF16_DF16_DF16_EEv20rocsparse_operation_S1_16rocsparse_order_S2_T4_S3_S3_T3_NS_24const_host_device_scalarIT2_EEPKT5_lPKT6_lS7_PT7_PKS4_SH_21rocsparse_index_base_b
; %bb.0:
	s_clause 0x2
	s_load_dwordx2 s[16:17], s[4:5], 0x78
	s_load_dwordx2 s[0:1], s[4:5], 0x30
	s_load_dwordx4 s[8:11], s[4:5], 0x50
	s_waitcnt lgkmcnt(0)
	s_bitcmp1_b32 s17, 0
	v_mov_b32_e32 v9, s0
	s_cselect_b32 s2, -1, 0
	s_and_b32 vcc_lo, exec_lo, s2
	s_xor_b32 s2, s2, -1
	s_cbranch_vccnz .LBB29_2
; %bb.1:
	v_mov_b32_e32 v1, 0
	global_load_ushort v9, v1, s[0:1]
.LBB29_2:
	v_mov_b32_e32 v10, s10
	s_andn2_b32 vcc_lo, exec_lo, s2
	s_cbranch_vccnz .LBB29_4
; %bb.3:
	v_mov_b32_e32 v1, 0
	global_load_ushort v10, v1, s[10:11]
.LBB29_4:
	s_waitcnt vmcnt(0)
	v_cmp_eq_f16_e32 vcc_lo, 0, v9
	v_cmp_eq_f16_e64 s0, 1.0, v10
	s_and_b32 s0, vcc_lo, s0
	s_and_b32 vcc_lo, exec_lo, s0
	s_cbranch_vccnz .LBB29_27
; %bb.5:
	s_load_dwordx4 s[0:3], s[4:5], 0x20
	v_lshl_or_b32 v1, s6, 9, v0
	v_mov_b32_e32 v2, 0
	s_waitcnt lgkmcnt(0)
	v_cmp_gt_i64_e32 vcc_lo, s[2:3], v[1:2]
	s_and_saveexec_b32 s2, vcc_lo
	s_cbranch_execz .LBB29_27
; %bb.6:
	s_load_dwordx4 s[12:15], s[4:5], 0x68
	v_lshlrev_b64 v[3:4], 3, v[1:2]
	s_waitcnt lgkmcnt(0)
	v_add_co_u32 v5, vcc_lo, s12, v3
	v_add_co_ci_u32_e64 v6, null, s13, v4, vcc_lo
	v_add_co_u32 v3, vcc_lo, s14, v3
	v_add_co_ci_u32_e64 v4, null, s15, v4, vcc_lo
	global_load_dwordx2 v[7:8], v[5:6], off
	global_load_dwordx2 v[5:6], v[3:4], off
	s_clause 0x1
	s_load_dwordx4 s[12:15], s[4:5], 0x0
	s_load_dwordx2 s[2:3], s[4:5], 0x40
	s_waitcnt lgkmcnt(0)
	s_cmp_eq_u32 s14, 1
	s_cselect_b32 s10, -1, 0
	s_cmpk_eq_i32 s12, 0x6f
	s_cselect_b32 s11, -1, 0
	s_cmpk_lg_i32 s12, 0x6f
	s_cselect_b32 s6, -1, 0
	s_cmp_lg_u32 s14, 1
	s_waitcnt vmcnt(1)
	v_sub_co_u32 v7, vcc_lo, v7, s16
	v_subrev_co_ci_u32_e64 v8, null, 0, v8, vcc_lo
	s_cbranch_scc0 .LBB29_10
; %bb.7:
	v_mov_b32_e32 v3, v7
	v_mov_b32_e32 v4, v8
	s_andn2_b32 vcc_lo, exec_lo, s11
	s_cbranch_vccnz .LBB29_9
; %bb.8:
	v_mul_lo_u32 v11, v8, s2
	v_mul_lo_u32 v12, v7, s3
	v_mad_u64_u32 v[3:4], null, v7, s2, 0
	v_add3_u32 v4, v4, v12, v11
.LBB29_9:
	s_cbranch_execz .LBB29_11
	s_branch .LBB29_14
.LBB29_10:
                                        ; implicit-def: $vgpr3_vgpr4
.LBB29_11:
	s_andn2_b32 vcc_lo, exec_lo, s6
	s_cbranch_vccnz .LBB29_13
; %bb.12:
	v_mul_lo_u32 v3, v8, s2
	v_mul_lo_u32 v4, v7, s3
	v_mad_u64_u32 v[7:8], null, v7, s2, 0
	v_add3_u32 v8, v8, v4, v3
.LBB29_13:
	v_mov_b32_e32 v3, v7
	v_mov_b32_e32 v4, v8
.LBB29_14:
	s_cmp_eq_u32 s15, 1
	s_waitcnt vmcnt(0)
	v_sub_co_u32 v5, vcc_lo, v5, s16
	s_cselect_b32 s12, -1, 0
	s_cmpk_eq_i32 s13, 0x6f
	v_subrev_co_ci_u32_e64 v6, null, 0, v6, vcc_lo
	s_cselect_b32 s14, -1, 0
	s_cmpk_lg_i32 s13, 0x6f
	s_cselect_b32 s6, -1, 0
	s_cmp_lg_u32 s15, 1
	s_cbranch_scc0 .LBB29_21
; %bb.15:
	v_mov_b32_e32 v8, v6
	v_mov_b32_e32 v7, v5
	s_andn2_b32 vcc_lo, exec_lo, s6
	s_cbranch_vccnz .LBB29_17
; %bb.16:
	v_mul_lo_u32 v11, v6, s8
	v_mul_lo_u32 v12, v5, s9
	v_mad_u64_u32 v[7:8], null, v5, s8, 0
	v_add3_u32 v8, v8, v12, v11
.LBB29_17:
	s_cbranch_execz .LBB29_22
; %bb.18:
	s_load_dwordx2 s[6:7], s[4:5], 0x60
	v_cmp_lt_i64_e64 s13, s[0:1], 1
	s_and_b32 vcc_lo, exec_lo, s13
	s_cbranch_vccnz .LBB29_25
.LBB29_19:
	s_clause 0x1
	s_load_dwordx2 s[16:17], s[4:5], 0x48
	s_load_dwordx2 s[4:5], s[4:5], 0x38
	v_lshlrev_b64 v[5:6], 1, v[7:8]
	v_lshlrev_b64 v[7:8], 1, v[3:4]
	s_xor_b32 s10, s11, s10
	s_and_b32 s10, s10, exec_lo
	s_cselect_b32 s11, 0, s3
	s_cselect_b32 s10, 1, s2
	s_xor_b32 s2, s14, s12
	s_and_b32 s2, s2, exec_lo
	s_cselect_b32 s3, s9, 0
	s_cselect_b32 s2, s8, 1
	s_lshl_b64 s[2:3], s[2:3], 1
	s_waitcnt lgkmcnt(0)
	v_add_co_u32 v3, vcc_lo, s16, v5
	v_add_co_ci_u32_e64 v4, null, s17, v6, vcc_lo
	v_add_co_u32 v5, vcc_lo, s4, v7
	v_add_co_ci_u32_e64 v6, null, s5, v8, vcc_lo
	v_mov_b32_e32 v7, 0
	s_lshl_b64 s[4:5], s[10:11], 1
	.p2align	6
.LBB29_20:                              ; =>This Inner Loop Header: Depth=1
	global_load_ushort v8, v[5:6], off
	global_load_ushort v11, v[3:4], off
	v_add_co_u32 v3, vcc_lo, v3, s2
	v_add_co_ci_u32_e64 v4, null, s3, v4, vcc_lo
	v_add_co_u32 v5, vcc_lo, v5, s4
	s_add_u32 s0, s0, -1
	v_add_co_ci_u32_e64 v6, null, s5, v6, vcc_lo
	s_addc_u32 s1, s1, -1
	s_cmp_eq_u64 s[0:1], 0
	s_waitcnt vmcnt(0)
	v_fmac_f16_e32 v7, v8, v11
	s_cbranch_scc0 .LBB29_20
	s_branch .LBB29_26
.LBB29_21:
                                        ; implicit-def: $vgpr7_vgpr8
.LBB29_22:
	s_andn2_b32 vcc_lo, exec_lo, s14
	s_cbranch_vccnz .LBB29_24
; %bb.23:
	v_mul_lo_u32 v7, v6, s8
	v_mul_lo_u32 v8, v5, s9
	v_mad_u64_u32 v[5:6], null, v5, s8, 0
	v_add3_u32 v6, v6, v8, v7
.LBB29_24:
	v_mov_b32_e32 v8, v6
	v_mov_b32_e32 v7, v5
	s_load_dwordx2 s[6:7], s[4:5], 0x60
	v_cmp_lt_i64_e64 s13, s[0:1], 1
	s_and_b32 vcc_lo, exec_lo, s13
	s_cbranch_vccz .LBB29_19
.LBB29_25:
	v_mov_b32_e32 v7, 0
.LBB29_26:
	v_lshlrev_b64 v[1:2], 1, v[1:2]
	v_lshlrev_b32_e32 v3, 1, v0
	ds_write_b16 v3, v7
	s_waitcnt lgkmcnt(0)
	v_add_co_u32 v0, vcc_lo, s6, v1
	v_add_co_ci_u32_e64 v1, null, s7, v2, vcc_lo
	s_barrier
	buffer_gl0_inv
	global_load_ushort v2, v[0:1], off
	ds_read_u16 v3, v3
	s_waitcnt lgkmcnt(0)
	v_mul_f16_e32 v3, v9, v3
	s_waitcnt vmcnt(0)
	v_fmac_f16_e32 v3, v10, v2
	global_store_short v[0:1], v3, off
.LBB29_27:
	s_endpgm
	.section	.rodata,"a",@progbits
	.p2align	6, 0x0
	.amdhsa_kernel _ZN9rocsparseL17sddmm_coox_kernelILi512ELi1ELb0EDF16_llDF16_DF16_DF16_EEv20rocsparse_operation_S1_16rocsparse_order_S2_T4_S3_S3_T3_NS_24const_host_device_scalarIT2_EEPKT5_lPKT6_lS7_PT7_PKS4_SH_21rocsparse_index_base_b
		.amdhsa_group_segment_fixed_size 1024
		.amdhsa_private_segment_fixed_size 0
		.amdhsa_kernarg_size 128
		.amdhsa_user_sgpr_count 6
		.amdhsa_user_sgpr_private_segment_buffer 1
		.amdhsa_user_sgpr_dispatch_ptr 0
		.amdhsa_user_sgpr_queue_ptr 0
		.amdhsa_user_sgpr_kernarg_segment_ptr 1
		.amdhsa_user_sgpr_dispatch_id 0
		.amdhsa_user_sgpr_flat_scratch_init 0
		.amdhsa_user_sgpr_private_segment_size 0
		.amdhsa_wavefront_size32 1
		.amdhsa_uses_dynamic_stack 0
		.amdhsa_system_sgpr_private_segment_wavefront_offset 0
		.amdhsa_system_sgpr_workgroup_id_x 1
		.amdhsa_system_sgpr_workgroup_id_y 0
		.amdhsa_system_sgpr_workgroup_id_z 0
		.amdhsa_system_sgpr_workgroup_info 0
		.amdhsa_system_vgpr_workitem_id 0
		.amdhsa_next_free_vgpr 13
		.amdhsa_next_free_sgpr 18
		.amdhsa_reserve_vcc 1
		.amdhsa_reserve_flat_scratch 0
		.amdhsa_float_round_mode_32 0
		.amdhsa_float_round_mode_16_64 0
		.amdhsa_float_denorm_mode_32 3
		.amdhsa_float_denorm_mode_16_64 3
		.amdhsa_dx10_clamp 1
		.amdhsa_ieee_mode 1
		.amdhsa_fp16_overflow 0
		.amdhsa_workgroup_processor_mode 1
		.amdhsa_memory_ordered 1
		.amdhsa_forward_progress 1
		.amdhsa_shared_vgpr_count 0
		.amdhsa_exception_fp_ieee_invalid_op 0
		.amdhsa_exception_fp_denorm_src 0
		.amdhsa_exception_fp_ieee_div_zero 0
		.amdhsa_exception_fp_ieee_overflow 0
		.amdhsa_exception_fp_ieee_underflow 0
		.amdhsa_exception_fp_ieee_inexact 0
		.amdhsa_exception_int_div_zero 0
	.end_amdhsa_kernel
	.section	.text._ZN9rocsparseL17sddmm_coox_kernelILi512ELi1ELb0EDF16_llDF16_DF16_DF16_EEv20rocsparse_operation_S1_16rocsparse_order_S2_T4_S3_S3_T3_NS_24const_host_device_scalarIT2_EEPKT5_lPKT6_lS7_PT7_PKS4_SH_21rocsparse_index_base_b,"axG",@progbits,_ZN9rocsparseL17sddmm_coox_kernelILi512ELi1ELb0EDF16_llDF16_DF16_DF16_EEv20rocsparse_operation_S1_16rocsparse_order_S2_T4_S3_S3_T3_NS_24const_host_device_scalarIT2_EEPKT5_lPKT6_lS7_PT7_PKS4_SH_21rocsparse_index_base_b,comdat
.Lfunc_end29:
	.size	_ZN9rocsparseL17sddmm_coox_kernelILi512ELi1ELb0EDF16_llDF16_DF16_DF16_EEv20rocsparse_operation_S1_16rocsparse_order_S2_T4_S3_S3_T3_NS_24const_host_device_scalarIT2_EEPKT5_lPKT6_lS7_PT7_PKS4_SH_21rocsparse_index_base_b, .Lfunc_end29-_ZN9rocsparseL17sddmm_coox_kernelILi512ELi1ELb0EDF16_llDF16_DF16_DF16_EEv20rocsparse_operation_S1_16rocsparse_order_S2_T4_S3_S3_T3_NS_24const_host_device_scalarIT2_EEPKT5_lPKT6_lS7_PT7_PKS4_SH_21rocsparse_index_base_b
                                        ; -- End function
	.set _ZN9rocsparseL17sddmm_coox_kernelILi512ELi1ELb0EDF16_llDF16_DF16_DF16_EEv20rocsparse_operation_S1_16rocsparse_order_S2_T4_S3_S3_T3_NS_24const_host_device_scalarIT2_EEPKT5_lPKT6_lS7_PT7_PKS4_SH_21rocsparse_index_base_b.num_vgpr, 13
	.set _ZN9rocsparseL17sddmm_coox_kernelILi512ELi1ELb0EDF16_llDF16_DF16_DF16_EEv20rocsparse_operation_S1_16rocsparse_order_S2_T4_S3_S3_T3_NS_24const_host_device_scalarIT2_EEPKT5_lPKT6_lS7_PT7_PKS4_SH_21rocsparse_index_base_b.num_agpr, 0
	.set _ZN9rocsparseL17sddmm_coox_kernelILi512ELi1ELb0EDF16_llDF16_DF16_DF16_EEv20rocsparse_operation_S1_16rocsparse_order_S2_T4_S3_S3_T3_NS_24const_host_device_scalarIT2_EEPKT5_lPKT6_lS7_PT7_PKS4_SH_21rocsparse_index_base_b.numbered_sgpr, 18
	.set _ZN9rocsparseL17sddmm_coox_kernelILi512ELi1ELb0EDF16_llDF16_DF16_DF16_EEv20rocsparse_operation_S1_16rocsparse_order_S2_T4_S3_S3_T3_NS_24const_host_device_scalarIT2_EEPKT5_lPKT6_lS7_PT7_PKS4_SH_21rocsparse_index_base_b.num_named_barrier, 0
	.set _ZN9rocsparseL17sddmm_coox_kernelILi512ELi1ELb0EDF16_llDF16_DF16_DF16_EEv20rocsparse_operation_S1_16rocsparse_order_S2_T4_S3_S3_T3_NS_24const_host_device_scalarIT2_EEPKT5_lPKT6_lS7_PT7_PKS4_SH_21rocsparse_index_base_b.private_seg_size, 0
	.set _ZN9rocsparseL17sddmm_coox_kernelILi512ELi1ELb0EDF16_llDF16_DF16_DF16_EEv20rocsparse_operation_S1_16rocsparse_order_S2_T4_S3_S3_T3_NS_24const_host_device_scalarIT2_EEPKT5_lPKT6_lS7_PT7_PKS4_SH_21rocsparse_index_base_b.uses_vcc, 1
	.set _ZN9rocsparseL17sddmm_coox_kernelILi512ELi1ELb0EDF16_llDF16_DF16_DF16_EEv20rocsparse_operation_S1_16rocsparse_order_S2_T4_S3_S3_T3_NS_24const_host_device_scalarIT2_EEPKT5_lPKT6_lS7_PT7_PKS4_SH_21rocsparse_index_base_b.uses_flat_scratch, 0
	.set _ZN9rocsparseL17sddmm_coox_kernelILi512ELi1ELb0EDF16_llDF16_DF16_DF16_EEv20rocsparse_operation_S1_16rocsparse_order_S2_T4_S3_S3_T3_NS_24const_host_device_scalarIT2_EEPKT5_lPKT6_lS7_PT7_PKS4_SH_21rocsparse_index_base_b.has_dyn_sized_stack, 0
	.set _ZN9rocsparseL17sddmm_coox_kernelILi512ELi1ELb0EDF16_llDF16_DF16_DF16_EEv20rocsparse_operation_S1_16rocsparse_order_S2_T4_S3_S3_T3_NS_24const_host_device_scalarIT2_EEPKT5_lPKT6_lS7_PT7_PKS4_SH_21rocsparse_index_base_b.has_recursion, 0
	.set _ZN9rocsparseL17sddmm_coox_kernelILi512ELi1ELb0EDF16_llDF16_DF16_DF16_EEv20rocsparse_operation_S1_16rocsparse_order_S2_T4_S3_S3_T3_NS_24const_host_device_scalarIT2_EEPKT5_lPKT6_lS7_PT7_PKS4_SH_21rocsparse_index_base_b.has_indirect_call, 0
	.section	.AMDGPU.csdata,"",@progbits
; Kernel info:
; codeLenInByte = 952
; TotalNumSgprs: 20
; NumVgprs: 13
; ScratchSize: 0
; MemoryBound: 0
; FloatMode: 240
; IeeeMode: 1
; LDSByteSize: 1024 bytes/workgroup (compile time only)
; SGPRBlocks: 0
; VGPRBlocks: 1
; NumSGPRsForWavesPerEU: 20
; NumVGPRsForWavesPerEU: 13
; Occupancy: 16
; WaveLimiterHint : 0
; COMPUTE_PGM_RSRC2:SCRATCH_EN: 0
; COMPUTE_PGM_RSRC2:USER_SGPR: 6
; COMPUTE_PGM_RSRC2:TRAP_HANDLER: 0
; COMPUTE_PGM_RSRC2:TGID_X_EN: 1
; COMPUTE_PGM_RSRC2:TGID_Y_EN: 0
; COMPUTE_PGM_RSRC2:TGID_Z_EN: 0
; COMPUTE_PGM_RSRC2:TIDIG_COMP_CNT: 0
	.section	.text._ZN9rocsparseL24sddmm_coox_sample_kernelILi512ELb0EfllfEEvT3_S1_T2_PKT4_S1_PS3_PKS2_S8_21rocsparse_index_base_,"axG",@progbits,_ZN9rocsparseL24sddmm_coox_sample_kernelILi512ELb0EfllfEEvT3_S1_T2_PKT4_S1_PS3_PKS2_S8_21rocsparse_index_base_,comdat
	.globl	_ZN9rocsparseL24sddmm_coox_sample_kernelILi512ELb0EfllfEEvT3_S1_T2_PKT4_S1_PS3_PKS2_S8_21rocsparse_index_base_ ; -- Begin function _ZN9rocsparseL24sddmm_coox_sample_kernelILi512ELb0EfllfEEvT3_S1_T2_PKT4_S1_PS3_PKS2_S8_21rocsparse_index_base_
	.p2align	8
	.type	_ZN9rocsparseL24sddmm_coox_sample_kernelILi512ELb0EfllfEEvT3_S1_T2_PKT4_S1_PS3_PKS2_S8_21rocsparse_index_base_,@function
_ZN9rocsparseL24sddmm_coox_sample_kernelILi512ELb0EfllfEEvT3_S1_T2_PKT4_S1_PS3_PKS2_S8_21rocsparse_index_base_: ; @_ZN9rocsparseL24sddmm_coox_sample_kernelILi512ELb0EfllfEEvT3_S1_T2_PKT4_S1_PS3_PKS2_S8_21rocsparse_index_base_
; %bb.0:
	s_load_dwordx2 s[2:3], s[4:5], 0x10
	v_lshl_or_b32 v0, s6, 9, v0
	v_mov_b32_e32 v1, 0
	s_mov_b32 s0, exec_lo
	s_waitcnt lgkmcnt(0)
	v_cmpx_gt_i64_e64 s[2:3], v[0:1]
	s_cbranch_execz .LBB30_3
; %bb.1:
	s_clause 0x3
	s_load_dword s0, s[4:5], 0x48
	s_load_dwordx2 s[12:13], s[4:5], 0x38
	s_load_dword s1, s[4:5], 0x40
	s_load_dwordx8 s[4:11], s[4:5], 0x18
	v_mov_b32_e32 v3, v1
	v_mov_b32_e32 v2, v0
	s_mov_b32 s15, 0
	s_waitcnt lgkmcnt(0)
	s_lshl_b32 s14, s0, 9
	v_add_nc_u32_e32 v0, s14, v0
.LBB30_2:                               ; =>This Inner Loop Header: Depth=1
	v_lshlrev_b64 v[4:5], 3, v[2:3]
	v_add_co_u32 v6, vcc_lo, s12, v4
	v_add_co_ci_u32_e64 v7, null, s13, v5, vcc_lo
	v_add_co_u32 v4, vcc_lo, s10, v4
	v_add_co_ci_u32_e64 v5, null, s11, v5, vcc_lo
	global_load_dwordx2 v[6:7], v[6:7], off
	global_load_dwordx2 v[4:5], v[4:5], off
	s_waitcnt vmcnt(1)
	v_sub_co_u32 v6, vcc_lo, v6, s1
	v_subrev_co_ci_u32_e64 v7, null, 0, v7, vcc_lo
	s_waitcnt vmcnt(0)
	v_sub_co_u32 v4, vcc_lo, v4, s1
	v_mul_lo_u32 v9, v6, s7
	v_mul_lo_u32 v8, v7, s6
	v_mad_u64_u32 v[6:7], null, v6, s6, 0
	v_subrev_co_ci_u32_e64 v5, null, 0, v5, vcc_lo
	v_lshlrev_b64 v[4:5], 2, v[4:5]
	v_add3_u32 v7, v7, v9, v8
	v_lshlrev_b64 v[6:7], 2, v[6:7]
	v_add_co_u32 v6, vcc_lo, s4, v6
	v_add_co_ci_u32_e64 v7, null, s5, v7, vcc_lo
	v_add_co_u32 v4, vcc_lo, v6, v4
	v_add_co_ci_u32_e64 v5, null, v7, v5, vcc_lo
	v_cmp_le_u64_e32 vcc_lo, s[2:3], v[0:1]
	global_load_dword v6, v[4:5], off
	v_lshlrev_b64 v[4:5], 2, v[2:3]
	v_mov_b32_e32 v3, v1
	v_mov_b32_e32 v2, v0
	v_add_nc_u32_e32 v0, s14, v0
	s_or_b32 s15, vcc_lo, s15
	v_add_co_u32 v4, s0, s8, v4
	v_add_co_ci_u32_e64 v5, null, s9, v5, s0
	s_waitcnt vmcnt(0)
	global_store_dword v[4:5], v6, off
	s_andn2_b32 exec_lo, exec_lo, s15
	s_cbranch_execnz .LBB30_2
.LBB30_3:
	s_endpgm
	.section	.rodata,"a",@progbits
	.p2align	6, 0x0
	.amdhsa_kernel _ZN9rocsparseL24sddmm_coox_sample_kernelILi512ELb0EfllfEEvT3_S1_T2_PKT4_S1_PS3_PKS2_S8_21rocsparse_index_base_
		.amdhsa_group_segment_fixed_size 0
		.amdhsa_private_segment_fixed_size 0
		.amdhsa_kernarg_size 328
		.amdhsa_user_sgpr_count 6
		.amdhsa_user_sgpr_private_segment_buffer 1
		.amdhsa_user_sgpr_dispatch_ptr 0
		.amdhsa_user_sgpr_queue_ptr 0
		.amdhsa_user_sgpr_kernarg_segment_ptr 1
		.amdhsa_user_sgpr_dispatch_id 0
		.amdhsa_user_sgpr_flat_scratch_init 0
		.amdhsa_user_sgpr_private_segment_size 0
		.amdhsa_wavefront_size32 1
		.amdhsa_uses_dynamic_stack 0
		.amdhsa_system_sgpr_private_segment_wavefront_offset 0
		.amdhsa_system_sgpr_workgroup_id_x 1
		.amdhsa_system_sgpr_workgroup_id_y 0
		.amdhsa_system_sgpr_workgroup_id_z 0
		.amdhsa_system_sgpr_workgroup_info 0
		.amdhsa_system_vgpr_workitem_id 0
		.amdhsa_next_free_vgpr 10
		.amdhsa_next_free_sgpr 16
		.amdhsa_reserve_vcc 1
		.amdhsa_reserve_flat_scratch 0
		.amdhsa_float_round_mode_32 0
		.amdhsa_float_round_mode_16_64 0
		.amdhsa_float_denorm_mode_32 3
		.amdhsa_float_denorm_mode_16_64 3
		.amdhsa_dx10_clamp 1
		.amdhsa_ieee_mode 1
		.amdhsa_fp16_overflow 0
		.amdhsa_workgroup_processor_mode 1
		.amdhsa_memory_ordered 1
		.amdhsa_forward_progress 1
		.amdhsa_shared_vgpr_count 0
		.amdhsa_exception_fp_ieee_invalid_op 0
		.amdhsa_exception_fp_denorm_src 0
		.amdhsa_exception_fp_ieee_div_zero 0
		.amdhsa_exception_fp_ieee_overflow 0
		.amdhsa_exception_fp_ieee_underflow 0
		.amdhsa_exception_fp_ieee_inexact 0
		.amdhsa_exception_int_div_zero 0
	.end_amdhsa_kernel
	.section	.text._ZN9rocsparseL24sddmm_coox_sample_kernelILi512ELb0EfllfEEvT3_S1_T2_PKT4_S1_PS3_PKS2_S8_21rocsparse_index_base_,"axG",@progbits,_ZN9rocsparseL24sddmm_coox_sample_kernelILi512ELb0EfllfEEvT3_S1_T2_PKT4_S1_PS3_PKS2_S8_21rocsparse_index_base_,comdat
.Lfunc_end30:
	.size	_ZN9rocsparseL24sddmm_coox_sample_kernelILi512ELb0EfllfEEvT3_S1_T2_PKT4_S1_PS3_PKS2_S8_21rocsparse_index_base_, .Lfunc_end30-_ZN9rocsparseL24sddmm_coox_sample_kernelILi512ELb0EfllfEEvT3_S1_T2_PKT4_S1_PS3_PKS2_S8_21rocsparse_index_base_
                                        ; -- End function
	.set _ZN9rocsparseL24sddmm_coox_sample_kernelILi512ELb0EfllfEEvT3_S1_T2_PKT4_S1_PS3_PKS2_S8_21rocsparse_index_base_.num_vgpr, 10
	.set _ZN9rocsparseL24sddmm_coox_sample_kernelILi512ELb0EfllfEEvT3_S1_T2_PKT4_S1_PS3_PKS2_S8_21rocsparse_index_base_.num_agpr, 0
	.set _ZN9rocsparseL24sddmm_coox_sample_kernelILi512ELb0EfllfEEvT3_S1_T2_PKT4_S1_PS3_PKS2_S8_21rocsparse_index_base_.numbered_sgpr, 16
	.set _ZN9rocsparseL24sddmm_coox_sample_kernelILi512ELb0EfllfEEvT3_S1_T2_PKT4_S1_PS3_PKS2_S8_21rocsparse_index_base_.num_named_barrier, 0
	.set _ZN9rocsparseL24sddmm_coox_sample_kernelILi512ELb0EfllfEEvT3_S1_T2_PKT4_S1_PS3_PKS2_S8_21rocsparse_index_base_.private_seg_size, 0
	.set _ZN9rocsparseL24sddmm_coox_sample_kernelILi512ELb0EfllfEEvT3_S1_T2_PKT4_S1_PS3_PKS2_S8_21rocsparse_index_base_.uses_vcc, 1
	.set _ZN9rocsparseL24sddmm_coox_sample_kernelILi512ELb0EfllfEEvT3_S1_T2_PKT4_S1_PS3_PKS2_S8_21rocsparse_index_base_.uses_flat_scratch, 0
	.set _ZN9rocsparseL24sddmm_coox_sample_kernelILi512ELb0EfllfEEvT3_S1_T2_PKT4_S1_PS3_PKS2_S8_21rocsparse_index_base_.has_dyn_sized_stack, 0
	.set _ZN9rocsparseL24sddmm_coox_sample_kernelILi512ELb0EfllfEEvT3_S1_T2_PKT4_S1_PS3_PKS2_S8_21rocsparse_index_base_.has_recursion, 0
	.set _ZN9rocsparseL24sddmm_coox_sample_kernelILi512ELb0EfllfEEvT3_S1_T2_PKT4_S1_PS3_PKS2_S8_21rocsparse_index_base_.has_indirect_call, 0
	.section	.AMDGPU.csdata,"",@progbits
; Kernel info:
; codeLenInByte = 352
; TotalNumSgprs: 18
; NumVgprs: 10
; ScratchSize: 0
; MemoryBound: 0
; FloatMode: 240
; IeeeMode: 1
; LDSByteSize: 0 bytes/workgroup (compile time only)
; SGPRBlocks: 0
; VGPRBlocks: 1
; NumSGPRsForWavesPerEU: 18
; NumVGPRsForWavesPerEU: 10
; Occupancy: 16
; WaveLimiterHint : 1
; COMPUTE_PGM_RSRC2:SCRATCH_EN: 0
; COMPUTE_PGM_RSRC2:USER_SGPR: 6
; COMPUTE_PGM_RSRC2:TRAP_HANDLER: 0
; COMPUTE_PGM_RSRC2:TGID_X_EN: 1
; COMPUTE_PGM_RSRC2:TGID_Y_EN: 0
; COMPUTE_PGM_RSRC2:TGID_Z_EN: 0
; COMPUTE_PGM_RSRC2:TIDIG_COMP_CNT: 0
	.section	.text._ZN9rocsparseL17sddmm_coox_kernelILi512ELi8ELb0EfllfffEEv20rocsparse_operation_S1_16rocsparse_order_S2_T4_S3_S3_T3_NS_24const_host_device_scalarIT2_EEPKT5_lPKT6_lS7_PT7_PKS4_SH_21rocsparse_index_base_b,"axG",@progbits,_ZN9rocsparseL17sddmm_coox_kernelILi512ELi8ELb0EfllfffEEv20rocsparse_operation_S1_16rocsparse_order_S2_T4_S3_S3_T3_NS_24const_host_device_scalarIT2_EEPKT5_lPKT6_lS7_PT7_PKS4_SH_21rocsparse_index_base_b,comdat
	.globl	_ZN9rocsparseL17sddmm_coox_kernelILi512ELi8ELb0EfllfffEEv20rocsparse_operation_S1_16rocsparse_order_S2_T4_S3_S3_T3_NS_24const_host_device_scalarIT2_EEPKT5_lPKT6_lS7_PT7_PKS4_SH_21rocsparse_index_base_b ; -- Begin function _ZN9rocsparseL17sddmm_coox_kernelILi512ELi8ELb0EfllfffEEv20rocsparse_operation_S1_16rocsparse_order_S2_T4_S3_S3_T3_NS_24const_host_device_scalarIT2_EEPKT5_lPKT6_lS7_PT7_PKS4_SH_21rocsparse_index_base_b
	.p2align	8
	.type	_ZN9rocsparseL17sddmm_coox_kernelILi512ELi8ELb0EfllfffEEv20rocsparse_operation_S1_16rocsparse_order_S2_T4_S3_S3_T3_NS_24const_host_device_scalarIT2_EEPKT5_lPKT6_lS7_PT7_PKS4_SH_21rocsparse_index_base_b,@function
_ZN9rocsparseL17sddmm_coox_kernelILi512ELi8ELb0EfllfffEEv20rocsparse_operation_S1_16rocsparse_order_S2_T4_S3_S3_T3_NS_24const_host_device_scalarIT2_EEPKT5_lPKT6_lS7_PT7_PKS4_SH_21rocsparse_index_base_b: ; @_ZN9rocsparseL17sddmm_coox_kernelILi512ELi8ELb0EfllfffEEv20rocsparse_operation_S1_16rocsparse_order_S2_T4_S3_S3_T3_NS_24const_host_device_scalarIT2_EEPKT5_lPKT6_lS7_PT7_PKS4_SH_21rocsparse_index_base_b
; %bb.0:
	s_clause 0x2
	s_load_dwordx2 s[18:19], s[4:5], 0x78
	s_load_dwordx2 s[16:17], s[4:5], 0x30
	s_load_dwordx4 s[0:3], s[4:5], 0x50
	s_waitcnt lgkmcnt(0)
	s_bitcmp1_b32 s19, 0
	s_cselect_b32 s7, -1, 0
	s_and_b32 vcc_lo, exec_lo, s7
	s_xor_b32 s7, s7, -1
	s_cbranch_vccnz .LBB31_2
; %bb.1:
	s_load_dword s16, s[16:17], 0x0
.LBB31_2:
	s_andn2_b32 vcc_lo, exec_lo, s7
	s_cbranch_vccnz .LBB31_4
; %bb.3:
	s_load_dword s2, s[2:3], 0x0
.LBB31_4:
	s_waitcnt lgkmcnt(0)
	v_cmp_eq_f32_e64 s3, s16, 0
	v_cmp_eq_f32_e64 s7, s2, 1.0
	s_and_b32 s3, s3, s7
	s_and_b32 vcc_lo, exec_lo, s3
	s_cbranch_vccnz .LBB31_34
; %bb.5:
	s_load_dwordx4 s[8:11], s[4:5], 0x20
	v_lshrrev_b32_e32 v11, 3, v0
	v_mov_b32_e32 v2, 0
	s_mov_b32 s3, exec_lo
	v_lshl_or_b32 v1, s6, 6, v11
	s_waitcnt lgkmcnt(0)
	v_cmpx_gt_i64_e64 s[10:11], v[1:2]
	s_cbranch_execz .LBB31_34
; %bb.6:
	s_load_dwordx4 s[12:15], s[4:5], 0x68
	v_lshlrev_b64 v[3:4], 3, v[1:2]
	s_waitcnt lgkmcnt(0)
	v_add_co_u32 v5, vcc_lo, s12, v3
	v_add_co_ci_u32_e64 v6, null, s13, v4, vcc_lo
	v_add_co_u32 v3, vcc_lo, s14, v3
	v_add_co_ci_u32_e64 v4, null, s15, v4, vcc_lo
	global_load_dwordx2 v[5:6], v[5:6], off
	global_load_dwordx2 v[3:4], v[3:4], off
	s_clause 0x1
	s_load_dwordx4 s[12:15], s[4:5], 0x0
	s_load_dwordx2 s[10:11], s[4:5], 0x40
	s_waitcnt lgkmcnt(0)
	s_cmp_eq_u32 s14, 1
	s_cselect_b32 s3, -1, 0
	s_cmpk_eq_i32 s12, 0x6f
	s_cselect_b32 s17, -1, 0
	s_cmpk_lg_i32 s12, 0x6f
	s_cselect_b32 s6, -1, 0
	s_cmp_lg_u32 s14, 1
	s_waitcnt vmcnt(1)
	v_sub_co_u32 v7, vcc_lo, v5, s18
	v_subrev_co_ci_u32_e64 v8, null, 0, v6, vcc_lo
	s_cbranch_scc0 .LBB31_10
; %bb.7:
	v_mov_b32_e32 v5, v7
	v_mov_b32_e32 v6, v8
	s_andn2_b32 vcc_lo, exec_lo, s17
	s_cbranch_vccnz .LBB31_9
; %bb.8:
	v_mul_lo_u32 v9, v8, s10
	v_mul_lo_u32 v10, v7, s11
	v_mad_u64_u32 v[5:6], null, v7, s10, 0
	v_add3_u32 v6, v6, v10, v9
.LBB31_9:
	s_cbranch_execz .LBB31_11
	s_branch .LBB31_14
.LBB31_10:
                                        ; implicit-def: $vgpr5_vgpr6
.LBB31_11:
	s_andn2_b32 vcc_lo, exec_lo, s6
	s_cbranch_vccnz .LBB31_13
; %bb.12:
	v_mul_lo_u32 v5, v8, s10
	v_mul_lo_u32 v6, v7, s11
	v_mad_u64_u32 v[7:8], null, v7, s10, 0
	v_add3_u32 v8, v8, v6, v5
.LBB31_13:
	v_mov_b32_e32 v5, v7
	v_mov_b32_e32 v6, v8
.LBB31_14:
	s_cmp_eq_u32 s15, 1
	s_waitcnt vmcnt(0)
	v_sub_co_u32 v3, vcc_lo, v3, s18
	s_cselect_b32 s14, -1, 0
	s_cmpk_eq_i32 s13, 0x6f
	v_subrev_co_ci_u32_e64 v4, null, 0, v4, vcc_lo
	s_cselect_b32 s19, -1, 0
	s_cmpk_lg_i32 s13, 0x6f
	s_cselect_b32 s6, -1, 0
	s_cmp_lg_u32 s15, 1
	s_cbranch_scc0 .LBB31_18
; %bb.15:
	v_mov_b32_e32 v8, v4
	v_mov_b32_e32 v7, v3
	s_andn2_b32 vcc_lo, exec_lo, s6
	s_cbranch_vccnz .LBB31_17
; %bb.16:
	v_mul_lo_u32 v9, v4, s0
	v_mul_lo_u32 v10, v3, s1
	v_mad_u64_u32 v[7:8], null, v3, s0, 0
	v_add3_u32 v8, v8, v10, v9
.LBB31_17:
	s_cbranch_execz .LBB31_19
	s_branch .LBB31_22
.LBB31_18:
                                        ; implicit-def: $vgpr7_vgpr8
.LBB31_19:
	s_andn2_b32 vcc_lo, exec_lo, s19
	s_cbranch_vccnz .LBB31_21
; %bb.20:
	v_mul_lo_u32 v7, v4, s0
	v_mul_lo_u32 v8, v3, s1
	v_mad_u64_u32 v[3:4], null, v3, s0, 0
	v_add3_u32 v4, v4, v8, v7
.LBB31_21:
	v_mov_b32_e32 v8, v4
	v_mov_b32_e32 v7, v3
.LBB31_22:
	s_load_dwordx2 s[6:7], s[4:5], 0x60
	v_and_b32_e32 v3, 7, v0
	v_mov_b32_e32 v4, 0
	s_mov_b32 s12, exec_lo
	v_cmpx_gt_i64_e64 s[8:9], v[3:4]
	s_cbranch_execz .LBB31_26
; %bb.23:
	s_xor_b32 s3, s17, s3
	v_lshlrev_b64 v[7:8], 2, v[7:8]
	s_and_b32 s3, s3, exec_lo
	s_cselect_b32 s11, 0, s11
	s_cselect_b32 s10, 1, s10
	s_xor_b32 s3, s19, s14
	v_mad_u64_u32 v[9:10], null, s10, v3, 0
	s_and_b32 s3, s3, exec_lo
	s_cselect_b32 s14, s0, 1
	s_cselect_b32 s15, s1, 0
	v_mad_u64_u32 v[12:13], null, s14, v3, 0
	s_load_dwordx2 s[0:1], s[4:5], 0x38
	v_mov_b32_e32 v0, v10
	s_load_dwordx2 s[4:5], s[4:5], 0x48
	v_mov_b32_e32 v10, v13
	v_mad_u64_u32 v[13:14], null, s11, v3, v[0:1]
	v_mov_b32_e32 v0, 0
	s_lshl_b64 s[10:11], s[10:11], 5
	v_mad_u64_u32 v[14:15], null, s15, v3, v[10:11]
	v_lshlrev_b64 v[15:16], 2, v[5:6]
	v_mov_b32_e32 v6, v4
	v_mov_b32_e32 v10, v13
	;; [unrolled: 1-line block ×4, first 2 shown]
	v_lshlrev_b64 v[9:10], 2, v[9:10]
	v_lshlrev_b64 v[12:13], 2, v[12:13]
	v_add_co_u32 v4, vcc_lo, v9, v15
	v_add_co_ci_u32_e64 v9, null, v10, v16, vcc_lo
	v_add_co_u32 v10, vcc_lo, v12, v7
	v_add_co_ci_u32_e64 v12, null, v13, v8, vcc_lo
	s_waitcnt lgkmcnt(0)
	v_add_co_u32 v7, vcc_lo, s0, v4
	v_add_co_ci_u32_e64 v8, null, s1, v9, vcc_lo
	v_add_co_u32 v9, vcc_lo, s4, v10
	v_add_co_ci_u32_e64 v10, null, s5, v12, vcc_lo
	v_mov_b32_e32 v4, v0
	s_mov_b32 s1, 0
	s_lshl_b64 s[4:5], s[14:15], 5
	.p2align	6
.LBB31_24:                              ; =>This Inner Loop Header: Depth=1
	global_load_dword v0, v[7:8], off
	global_load_dword v12, v[9:10], off
	v_add_co_u32 v5, vcc_lo, v5, 8
	v_add_co_ci_u32_e64 v6, null, 0, v6, vcc_lo
	v_add_co_u32 v9, vcc_lo, v9, s4
	v_add_co_ci_u32_e64 v10, null, s5, v10, vcc_lo
	v_cmp_le_i64_e32 vcc_lo, s[8:9], v[5:6]
	v_add_co_u32 v7, s0, v7, s10
	v_add_co_ci_u32_e64 v8, null, s11, v8, s0
	s_or_b32 s1, vcc_lo, s1
	s_waitcnt vmcnt(0)
	v_fmac_f32_e32 v4, v0, v12
	s_andn2_b32 exec_lo, exec_lo, s1
	s_cbranch_execnz .LBB31_24
; %bb.25:
	s_or_b32 exec_lo, exec_lo, s1
.LBB31_26:
	s_or_b32 exec_lo, exec_lo, s12
	v_lshlrev_b32_e32 v0, 5, v11
	s_mov_b32 s0, exec_lo
	v_lshl_or_b32 v5, v3, 2, v0
	ds_write_b32 v5, v4
	s_waitcnt lgkmcnt(0)
	s_barrier
	buffer_gl0_inv
	v_cmpx_gt_u32_e32 4, v3
	s_cbranch_execz .LBB31_28
; %bb.27:
	ds_read2_b32 v[6:7], v5 offset1:4
	s_waitcnt lgkmcnt(0)
	v_add_f32_e32 v4, v7, v6
	ds_write_b32 v5, v4
.LBB31_28:
	s_or_b32 exec_lo, exec_lo, s0
	s_mov_b32 s0, exec_lo
	s_waitcnt lgkmcnt(0)
	s_barrier
	buffer_gl0_inv
	v_cmpx_gt_u32_e32 2, v3
	s_cbranch_execz .LBB31_30
; %bb.29:
	ds_read2_b32 v[6:7], v5 offset1:2
	s_waitcnt lgkmcnt(0)
	v_add_f32_e32 v4, v7, v6
	ds_write_b32 v5, v4
.LBB31_30:
	s_or_b32 exec_lo, exec_lo, s0
	v_cmp_eq_u32_e32 vcc_lo, 0, v3
	s_waitcnt lgkmcnt(0)
	s_barrier
	buffer_gl0_inv
	s_and_saveexec_b32 s0, vcc_lo
	s_cbranch_execz .LBB31_32
; %bb.31:
	ds_read2_b32 v[3:4], v5 offset1:1
	s_waitcnt lgkmcnt(0)
	v_add_f32_e32 v3, v4, v3
	ds_write_b32 v5, v3
.LBB31_32:
	s_or_b32 exec_lo, exec_lo, s0
	s_waitcnt lgkmcnt(0)
	s_barrier
	buffer_gl0_inv
	s_and_b32 exec_lo, exec_lo, vcc_lo
	s_cbranch_execz .LBB31_34
; %bb.33:
	v_lshlrev_b64 v[1:2], 2, v[1:2]
	ds_read_b32 v0, v0
	v_add_co_u32 v1, vcc_lo, s6, v1
	v_add_co_ci_u32_e64 v2, null, s7, v2, vcc_lo
	global_load_dword v3, v[1:2], off
	s_waitcnt lgkmcnt(0)
	v_mul_f32_e32 v0, s16, v0
	s_waitcnt vmcnt(0)
	v_fmac_f32_e32 v0, s2, v3
	global_store_dword v[1:2], v0, off
.LBB31_34:
	s_endpgm
	.section	.rodata,"a",@progbits
	.p2align	6, 0x0
	.amdhsa_kernel _ZN9rocsparseL17sddmm_coox_kernelILi512ELi8ELb0EfllfffEEv20rocsparse_operation_S1_16rocsparse_order_S2_T4_S3_S3_T3_NS_24const_host_device_scalarIT2_EEPKT5_lPKT6_lS7_PT7_PKS4_SH_21rocsparse_index_base_b
		.amdhsa_group_segment_fixed_size 2048
		.amdhsa_private_segment_fixed_size 0
		.amdhsa_kernarg_size 128
		.amdhsa_user_sgpr_count 6
		.amdhsa_user_sgpr_private_segment_buffer 1
		.amdhsa_user_sgpr_dispatch_ptr 0
		.amdhsa_user_sgpr_queue_ptr 0
		.amdhsa_user_sgpr_kernarg_segment_ptr 1
		.amdhsa_user_sgpr_dispatch_id 0
		.amdhsa_user_sgpr_flat_scratch_init 0
		.amdhsa_user_sgpr_private_segment_size 0
		.amdhsa_wavefront_size32 1
		.amdhsa_uses_dynamic_stack 0
		.amdhsa_system_sgpr_private_segment_wavefront_offset 0
		.amdhsa_system_sgpr_workgroup_id_x 1
		.amdhsa_system_sgpr_workgroup_id_y 0
		.amdhsa_system_sgpr_workgroup_id_z 0
		.amdhsa_system_sgpr_workgroup_info 0
		.amdhsa_system_vgpr_workitem_id 0
		.amdhsa_next_free_vgpr 17
		.amdhsa_next_free_sgpr 20
		.amdhsa_reserve_vcc 1
		.amdhsa_reserve_flat_scratch 0
		.amdhsa_float_round_mode_32 0
		.amdhsa_float_round_mode_16_64 0
		.amdhsa_float_denorm_mode_32 3
		.amdhsa_float_denorm_mode_16_64 3
		.amdhsa_dx10_clamp 1
		.amdhsa_ieee_mode 1
		.amdhsa_fp16_overflow 0
		.amdhsa_workgroup_processor_mode 1
		.amdhsa_memory_ordered 1
		.amdhsa_forward_progress 1
		.amdhsa_shared_vgpr_count 0
		.amdhsa_exception_fp_ieee_invalid_op 0
		.amdhsa_exception_fp_denorm_src 0
		.amdhsa_exception_fp_ieee_div_zero 0
		.amdhsa_exception_fp_ieee_overflow 0
		.amdhsa_exception_fp_ieee_underflow 0
		.amdhsa_exception_fp_ieee_inexact 0
		.amdhsa_exception_int_div_zero 0
	.end_amdhsa_kernel
	.section	.text._ZN9rocsparseL17sddmm_coox_kernelILi512ELi8ELb0EfllfffEEv20rocsparse_operation_S1_16rocsparse_order_S2_T4_S3_S3_T3_NS_24const_host_device_scalarIT2_EEPKT5_lPKT6_lS7_PT7_PKS4_SH_21rocsparse_index_base_b,"axG",@progbits,_ZN9rocsparseL17sddmm_coox_kernelILi512ELi8ELb0EfllfffEEv20rocsparse_operation_S1_16rocsparse_order_S2_T4_S3_S3_T3_NS_24const_host_device_scalarIT2_EEPKT5_lPKT6_lS7_PT7_PKS4_SH_21rocsparse_index_base_b,comdat
.Lfunc_end31:
	.size	_ZN9rocsparseL17sddmm_coox_kernelILi512ELi8ELb0EfllfffEEv20rocsparse_operation_S1_16rocsparse_order_S2_T4_S3_S3_T3_NS_24const_host_device_scalarIT2_EEPKT5_lPKT6_lS7_PT7_PKS4_SH_21rocsparse_index_base_b, .Lfunc_end31-_ZN9rocsparseL17sddmm_coox_kernelILi512ELi8ELb0EfllfffEEv20rocsparse_operation_S1_16rocsparse_order_S2_T4_S3_S3_T3_NS_24const_host_device_scalarIT2_EEPKT5_lPKT6_lS7_PT7_PKS4_SH_21rocsparse_index_base_b
                                        ; -- End function
	.set _ZN9rocsparseL17sddmm_coox_kernelILi512ELi8ELb0EfllfffEEv20rocsparse_operation_S1_16rocsparse_order_S2_T4_S3_S3_T3_NS_24const_host_device_scalarIT2_EEPKT5_lPKT6_lS7_PT7_PKS4_SH_21rocsparse_index_base_b.num_vgpr, 17
	.set _ZN9rocsparseL17sddmm_coox_kernelILi512ELi8ELb0EfllfffEEv20rocsparse_operation_S1_16rocsparse_order_S2_T4_S3_S3_T3_NS_24const_host_device_scalarIT2_EEPKT5_lPKT6_lS7_PT7_PKS4_SH_21rocsparse_index_base_b.num_agpr, 0
	.set _ZN9rocsparseL17sddmm_coox_kernelILi512ELi8ELb0EfllfffEEv20rocsparse_operation_S1_16rocsparse_order_S2_T4_S3_S3_T3_NS_24const_host_device_scalarIT2_EEPKT5_lPKT6_lS7_PT7_PKS4_SH_21rocsparse_index_base_b.numbered_sgpr, 20
	.set _ZN9rocsparseL17sddmm_coox_kernelILi512ELi8ELb0EfllfffEEv20rocsparse_operation_S1_16rocsparse_order_S2_T4_S3_S3_T3_NS_24const_host_device_scalarIT2_EEPKT5_lPKT6_lS7_PT7_PKS4_SH_21rocsparse_index_base_b.num_named_barrier, 0
	.set _ZN9rocsparseL17sddmm_coox_kernelILi512ELi8ELb0EfllfffEEv20rocsparse_operation_S1_16rocsparse_order_S2_T4_S3_S3_T3_NS_24const_host_device_scalarIT2_EEPKT5_lPKT6_lS7_PT7_PKS4_SH_21rocsparse_index_base_b.private_seg_size, 0
	.set _ZN9rocsparseL17sddmm_coox_kernelILi512ELi8ELb0EfllfffEEv20rocsparse_operation_S1_16rocsparse_order_S2_T4_S3_S3_T3_NS_24const_host_device_scalarIT2_EEPKT5_lPKT6_lS7_PT7_PKS4_SH_21rocsparse_index_base_b.uses_vcc, 1
	.set _ZN9rocsparseL17sddmm_coox_kernelILi512ELi8ELb0EfllfffEEv20rocsparse_operation_S1_16rocsparse_order_S2_T4_S3_S3_T3_NS_24const_host_device_scalarIT2_EEPKT5_lPKT6_lS7_PT7_PKS4_SH_21rocsparse_index_base_b.uses_flat_scratch, 0
	.set _ZN9rocsparseL17sddmm_coox_kernelILi512ELi8ELb0EfllfffEEv20rocsparse_operation_S1_16rocsparse_order_S2_T4_S3_S3_T3_NS_24const_host_device_scalarIT2_EEPKT5_lPKT6_lS7_PT7_PKS4_SH_21rocsparse_index_base_b.has_dyn_sized_stack, 0
	.set _ZN9rocsparseL17sddmm_coox_kernelILi512ELi8ELb0EfllfffEEv20rocsparse_operation_S1_16rocsparse_order_S2_T4_S3_S3_T3_NS_24const_host_device_scalarIT2_EEPKT5_lPKT6_lS7_PT7_PKS4_SH_21rocsparse_index_base_b.has_recursion, 0
	.set _ZN9rocsparseL17sddmm_coox_kernelILi512ELi8ELb0EfllfffEEv20rocsparse_operation_S1_16rocsparse_order_S2_T4_S3_S3_T3_NS_24const_host_device_scalarIT2_EEPKT5_lPKT6_lS7_PT7_PKS4_SH_21rocsparse_index_base_b.has_indirect_call, 0
	.section	.AMDGPU.csdata,"",@progbits
; Kernel info:
; codeLenInByte = 1208
; TotalNumSgprs: 22
; NumVgprs: 17
; ScratchSize: 0
; MemoryBound: 0
; FloatMode: 240
; IeeeMode: 1
; LDSByteSize: 2048 bytes/workgroup (compile time only)
; SGPRBlocks: 0
; VGPRBlocks: 2
; NumSGPRsForWavesPerEU: 22
; NumVGPRsForWavesPerEU: 17
; Occupancy: 16
; WaveLimiterHint : 0
; COMPUTE_PGM_RSRC2:SCRATCH_EN: 0
; COMPUTE_PGM_RSRC2:USER_SGPR: 6
; COMPUTE_PGM_RSRC2:TRAP_HANDLER: 0
; COMPUTE_PGM_RSRC2:TGID_X_EN: 1
; COMPUTE_PGM_RSRC2:TGID_Y_EN: 0
; COMPUTE_PGM_RSRC2:TGID_Z_EN: 0
; COMPUTE_PGM_RSRC2:TIDIG_COMP_CNT: 0
	.section	.text._ZN9rocsparseL17sddmm_coox_kernelILi512ELi4ELb0EfllfffEEv20rocsparse_operation_S1_16rocsparse_order_S2_T4_S3_S3_T3_NS_24const_host_device_scalarIT2_EEPKT5_lPKT6_lS7_PT7_PKS4_SH_21rocsparse_index_base_b,"axG",@progbits,_ZN9rocsparseL17sddmm_coox_kernelILi512ELi4ELb0EfllfffEEv20rocsparse_operation_S1_16rocsparse_order_S2_T4_S3_S3_T3_NS_24const_host_device_scalarIT2_EEPKT5_lPKT6_lS7_PT7_PKS4_SH_21rocsparse_index_base_b,comdat
	.globl	_ZN9rocsparseL17sddmm_coox_kernelILi512ELi4ELb0EfllfffEEv20rocsparse_operation_S1_16rocsparse_order_S2_T4_S3_S3_T3_NS_24const_host_device_scalarIT2_EEPKT5_lPKT6_lS7_PT7_PKS4_SH_21rocsparse_index_base_b ; -- Begin function _ZN9rocsparseL17sddmm_coox_kernelILi512ELi4ELb0EfllfffEEv20rocsparse_operation_S1_16rocsparse_order_S2_T4_S3_S3_T3_NS_24const_host_device_scalarIT2_EEPKT5_lPKT6_lS7_PT7_PKS4_SH_21rocsparse_index_base_b
	.p2align	8
	.type	_ZN9rocsparseL17sddmm_coox_kernelILi512ELi4ELb0EfllfffEEv20rocsparse_operation_S1_16rocsparse_order_S2_T4_S3_S3_T3_NS_24const_host_device_scalarIT2_EEPKT5_lPKT6_lS7_PT7_PKS4_SH_21rocsparse_index_base_b,@function
_ZN9rocsparseL17sddmm_coox_kernelILi512ELi4ELb0EfllfffEEv20rocsparse_operation_S1_16rocsparse_order_S2_T4_S3_S3_T3_NS_24const_host_device_scalarIT2_EEPKT5_lPKT6_lS7_PT7_PKS4_SH_21rocsparse_index_base_b: ; @_ZN9rocsparseL17sddmm_coox_kernelILi512ELi4ELb0EfllfffEEv20rocsparse_operation_S1_16rocsparse_order_S2_T4_S3_S3_T3_NS_24const_host_device_scalarIT2_EEPKT5_lPKT6_lS7_PT7_PKS4_SH_21rocsparse_index_base_b
; %bb.0:
	s_clause 0x2
	s_load_dwordx2 s[18:19], s[4:5], 0x78
	s_load_dwordx2 s[16:17], s[4:5], 0x30
	s_load_dwordx4 s[0:3], s[4:5], 0x50
	s_waitcnt lgkmcnt(0)
	s_bitcmp1_b32 s19, 0
	s_cselect_b32 s7, -1, 0
	s_and_b32 vcc_lo, exec_lo, s7
	s_xor_b32 s7, s7, -1
	s_cbranch_vccnz .LBB32_2
; %bb.1:
	s_load_dword s16, s[16:17], 0x0
.LBB32_2:
	s_andn2_b32 vcc_lo, exec_lo, s7
	s_cbranch_vccnz .LBB32_4
; %bb.3:
	s_load_dword s2, s[2:3], 0x0
.LBB32_4:
	s_waitcnt lgkmcnt(0)
	v_cmp_eq_f32_e64 s3, s16, 0
	v_cmp_eq_f32_e64 s7, s2, 1.0
	s_and_b32 s3, s3, s7
	s_and_b32 vcc_lo, exec_lo, s3
	s_cbranch_vccnz .LBB32_32
; %bb.5:
	s_load_dwordx4 s[8:11], s[4:5], 0x20
	v_lshrrev_b32_e32 v11, 2, v0
	v_mov_b32_e32 v2, 0
	s_mov_b32 s3, exec_lo
	v_lshl_or_b32 v1, s6, 7, v11
	s_waitcnt lgkmcnt(0)
	v_cmpx_gt_i64_e64 s[10:11], v[1:2]
	s_cbranch_execz .LBB32_32
; %bb.6:
	s_load_dwordx4 s[12:15], s[4:5], 0x68
	v_lshlrev_b64 v[3:4], 3, v[1:2]
	s_waitcnt lgkmcnt(0)
	v_add_co_u32 v5, vcc_lo, s12, v3
	v_add_co_ci_u32_e64 v6, null, s13, v4, vcc_lo
	v_add_co_u32 v3, vcc_lo, s14, v3
	v_add_co_ci_u32_e64 v4, null, s15, v4, vcc_lo
	global_load_dwordx2 v[7:8], v[5:6], off
	global_load_dwordx2 v[5:6], v[3:4], off
	s_clause 0x1
	s_load_dwordx4 s[12:15], s[4:5], 0x0
	s_load_dwordx2 s[10:11], s[4:5], 0x40
	s_waitcnt lgkmcnt(0)
	s_cmp_eq_u32 s14, 1
	s_cselect_b32 s3, -1, 0
	s_cmpk_eq_i32 s12, 0x6f
	s_cselect_b32 s17, -1, 0
	s_cmpk_lg_i32 s12, 0x6f
	s_cselect_b32 s6, -1, 0
	s_cmp_lg_u32 s14, 1
	s_waitcnt vmcnt(1)
	v_sub_co_u32 v7, vcc_lo, v7, s18
	v_subrev_co_ci_u32_e64 v8, null, 0, v8, vcc_lo
	s_cbranch_scc0 .LBB32_10
; %bb.7:
	v_mov_b32_e32 v3, v7
	v_mov_b32_e32 v4, v8
	s_andn2_b32 vcc_lo, exec_lo, s17
	s_cbranch_vccnz .LBB32_9
; %bb.8:
	v_mul_lo_u32 v9, v8, s10
	v_mul_lo_u32 v10, v7, s11
	v_mad_u64_u32 v[3:4], null, v7, s10, 0
	v_add3_u32 v4, v4, v10, v9
.LBB32_9:
	s_cbranch_execz .LBB32_11
	s_branch .LBB32_14
.LBB32_10:
                                        ; implicit-def: $vgpr3_vgpr4
.LBB32_11:
	s_andn2_b32 vcc_lo, exec_lo, s6
	s_cbranch_vccnz .LBB32_13
; %bb.12:
	v_mul_lo_u32 v3, v8, s10
	v_mul_lo_u32 v4, v7, s11
	v_mad_u64_u32 v[7:8], null, v7, s10, 0
	v_add3_u32 v8, v8, v4, v3
.LBB32_13:
	v_mov_b32_e32 v3, v7
	v_mov_b32_e32 v4, v8
.LBB32_14:
	s_cmp_eq_u32 s15, 1
	s_waitcnt vmcnt(0)
	v_sub_co_u32 v5, vcc_lo, v5, s18
	s_cselect_b32 s14, -1, 0
	s_cmpk_eq_i32 s13, 0x6f
	v_subrev_co_ci_u32_e64 v6, null, 0, v6, vcc_lo
	s_cselect_b32 s19, -1, 0
	s_cmpk_lg_i32 s13, 0x6f
	s_cselect_b32 s6, -1, 0
	s_cmp_lg_u32 s15, 1
	s_cbranch_scc0 .LBB32_18
; %bb.15:
	v_mov_b32_e32 v8, v6
	v_mov_b32_e32 v7, v5
	s_andn2_b32 vcc_lo, exec_lo, s6
	s_cbranch_vccnz .LBB32_17
; %bb.16:
	v_mul_lo_u32 v9, v6, s0
	v_mul_lo_u32 v10, v5, s1
	v_mad_u64_u32 v[7:8], null, v5, s0, 0
	v_add3_u32 v8, v8, v10, v9
.LBB32_17:
	s_cbranch_execz .LBB32_19
	s_branch .LBB32_22
.LBB32_18:
                                        ; implicit-def: $vgpr7_vgpr8
.LBB32_19:
	s_andn2_b32 vcc_lo, exec_lo, s19
	s_cbranch_vccnz .LBB32_21
; %bb.20:
	v_mul_lo_u32 v7, v6, s0
	v_mul_lo_u32 v8, v5, s1
	v_mad_u64_u32 v[5:6], null, v5, s0, 0
	v_add3_u32 v6, v6, v8, v7
.LBB32_21:
	v_mov_b32_e32 v8, v6
	v_mov_b32_e32 v7, v5
.LBB32_22:
	s_load_dwordx2 s[6:7], s[4:5], 0x60
	v_and_b32_e32 v5, 3, v0
	v_mov_b32_e32 v6, 0
	s_mov_b32 s12, exec_lo
	v_cmpx_gt_i64_e64 s[8:9], v[5:6]
	s_cbranch_execz .LBB32_26
; %bb.23:
	s_xor_b32 s3, s17, s3
	v_lshlrev_b64 v[7:8], 2, v[7:8]
	s_and_b32 s3, s3, exec_lo
	s_cselect_b32 s11, 0, s11
	s_cselect_b32 s10, 1, s10
	s_xor_b32 s3, s19, s14
	v_mad_u64_u32 v[9:10], null, s10, v5, 0
	s_and_b32 s3, s3, exec_lo
	s_cselect_b32 s14, s0, 1
	s_cselect_b32 s15, s1, 0
	v_mad_u64_u32 v[12:13], null, s14, v5, 0
	s_load_dwordx2 s[0:1], s[4:5], 0x38
	v_mov_b32_e32 v0, v10
	s_load_dwordx2 s[4:5], s[4:5], 0x48
	v_mov_b32_e32 v10, v13
	v_mad_u64_u32 v[13:14], null, s11, v5, v[0:1]
	v_mov_b32_e32 v0, 0
	s_lshl_b64 s[10:11], s[10:11], 4
	v_mad_u64_u32 v[14:15], null, s15, v5, v[10:11]
	v_lshlrev_b64 v[15:16], 2, v[3:4]
	v_mov_b32_e32 v3, v5
	v_mov_b32_e32 v10, v13
	;; [unrolled: 1-line block ×4, first 2 shown]
	v_lshlrev_b64 v[9:10], 2, v[9:10]
	v_lshlrev_b64 v[12:13], 2, v[12:13]
	v_add_co_u32 v6, vcc_lo, v9, v15
	v_add_co_ci_u32_e64 v9, null, v10, v16, vcc_lo
	v_add_co_u32 v10, vcc_lo, v12, v7
	v_add_co_ci_u32_e64 v12, null, v13, v8, vcc_lo
	s_waitcnt lgkmcnt(0)
	v_add_co_u32 v7, vcc_lo, s0, v6
	v_add_co_ci_u32_e64 v8, null, s1, v9, vcc_lo
	v_add_co_u32 v9, vcc_lo, s4, v10
	v_add_co_ci_u32_e64 v10, null, s5, v12, vcc_lo
	v_mov_b32_e32 v6, v0
	s_mov_b32 s1, 0
	s_lshl_b64 s[4:5], s[14:15], 4
	.p2align	6
.LBB32_24:                              ; =>This Inner Loop Header: Depth=1
	global_load_dword v0, v[7:8], off
	global_load_dword v12, v[9:10], off
	v_add_co_u32 v3, vcc_lo, v3, 4
	v_add_co_ci_u32_e64 v4, null, 0, v4, vcc_lo
	v_add_co_u32 v9, vcc_lo, v9, s4
	v_add_co_ci_u32_e64 v10, null, s5, v10, vcc_lo
	v_cmp_le_i64_e32 vcc_lo, s[8:9], v[3:4]
	v_add_co_u32 v7, s0, v7, s10
	v_add_co_ci_u32_e64 v8, null, s11, v8, s0
	s_or_b32 s1, vcc_lo, s1
	s_waitcnt vmcnt(0)
	v_fmac_f32_e32 v6, v0, v12
	s_andn2_b32 exec_lo, exec_lo, s1
	s_cbranch_execnz .LBB32_24
; %bb.25:
	s_or_b32 exec_lo, exec_lo, s1
.LBB32_26:
	s_or_b32 exec_lo, exec_lo, s12
	v_lshlrev_b32_e32 v0, 4, v11
	s_mov_b32 s0, exec_lo
	v_lshl_or_b32 v3, v5, 2, v0
	ds_write_b32 v3, v6
	s_waitcnt lgkmcnt(0)
	s_barrier
	buffer_gl0_inv
	v_cmpx_gt_u32_e32 2, v5
	s_cbranch_execz .LBB32_28
; %bb.27:
	ds_read2_b32 v[6:7], v3 offset1:2
	s_waitcnt lgkmcnt(0)
	v_add_f32_e32 v4, v7, v6
	ds_write_b32 v3, v4
.LBB32_28:
	s_or_b32 exec_lo, exec_lo, s0
	v_cmp_eq_u32_e32 vcc_lo, 0, v5
	s_waitcnt lgkmcnt(0)
	s_barrier
	buffer_gl0_inv
	s_and_saveexec_b32 s0, vcc_lo
	s_cbranch_execz .LBB32_30
; %bb.29:
	ds_read2_b32 v[4:5], v3 offset1:1
	s_waitcnt lgkmcnt(0)
	v_add_f32_e32 v4, v5, v4
	ds_write_b32 v3, v4
.LBB32_30:
	s_or_b32 exec_lo, exec_lo, s0
	s_waitcnt lgkmcnt(0)
	s_barrier
	buffer_gl0_inv
	s_and_b32 exec_lo, exec_lo, vcc_lo
	s_cbranch_execz .LBB32_32
; %bb.31:
	v_lshlrev_b64 v[1:2], 2, v[1:2]
	ds_read_b32 v0, v0
	v_add_co_u32 v1, vcc_lo, s6, v1
	v_add_co_ci_u32_e64 v2, null, s7, v2, vcc_lo
	global_load_dword v3, v[1:2], off
	s_waitcnt lgkmcnt(0)
	v_mul_f32_e32 v0, s16, v0
	s_waitcnt vmcnt(0)
	v_fmac_f32_e32 v0, s2, v3
	global_store_dword v[1:2], v0, off
.LBB32_32:
	s_endpgm
	.section	.rodata,"a",@progbits
	.p2align	6, 0x0
	.amdhsa_kernel _ZN9rocsparseL17sddmm_coox_kernelILi512ELi4ELb0EfllfffEEv20rocsparse_operation_S1_16rocsparse_order_S2_T4_S3_S3_T3_NS_24const_host_device_scalarIT2_EEPKT5_lPKT6_lS7_PT7_PKS4_SH_21rocsparse_index_base_b
		.amdhsa_group_segment_fixed_size 2048
		.amdhsa_private_segment_fixed_size 0
		.amdhsa_kernarg_size 128
		.amdhsa_user_sgpr_count 6
		.amdhsa_user_sgpr_private_segment_buffer 1
		.amdhsa_user_sgpr_dispatch_ptr 0
		.amdhsa_user_sgpr_queue_ptr 0
		.amdhsa_user_sgpr_kernarg_segment_ptr 1
		.amdhsa_user_sgpr_dispatch_id 0
		.amdhsa_user_sgpr_flat_scratch_init 0
		.amdhsa_user_sgpr_private_segment_size 0
		.amdhsa_wavefront_size32 1
		.amdhsa_uses_dynamic_stack 0
		.amdhsa_system_sgpr_private_segment_wavefront_offset 0
		.amdhsa_system_sgpr_workgroup_id_x 1
		.amdhsa_system_sgpr_workgroup_id_y 0
		.amdhsa_system_sgpr_workgroup_id_z 0
		.amdhsa_system_sgpr_workgroup_info 0
		.amdhsa_system_vgpr_workitem_id 0
		.amdhsa_next_free_vgpr 17
		.amdhsa_next_free_sgpr 20
		.amdhsa_reserve_vcc 1
		.amdhsa_reserve_flat_scratch 0
		.amdhsa_float_round_mode_32 0
		.amdhsa_float_round_mode_16_64 0
		.amdhsa_float_denorm_mode_32 3
		.amdhsa_float_denorm_mode_16_64 3
		.amdhsa_dx10_clamp 1
		.amdhsa_ieee_mode 1
		.amdhsa_fp16_overflow 0
		.amdhsa_workgroup_processor_mode 1
		.amdhsa_memory_ordered 1
		.amdhsa_forward_progress 1
		.amdhsa_shared_vgpr_count 0
		.amdhsa_exception_fp_ieee_invalid_op 0
		.amdhsa_exception_fp_denorm_src 0
		.amdhsa_exception_fp_ieee_div_zero 0
		.amdhsa_exception_fp_ieee_overflow 0
		.amdhsa_exception_fp_ieee_underflow 0
		.amdhsa_exception_fp_ieee_inexact 0
		.amdhsa_exception_int_div_zero 0
	.end_amdhsa_kernel
	.section	.text._ZN9rocsparseL17sddmm_coox_kernelILi512ELi4ELb0EfllfffEEv20rocsparse_operation_S1_16rocsparse_order_S2_T4_S3_S3_T3_NS_24const_host_device_scalarIT2_EEPKT5_lPKT6_lS7_PT7_PKS4_SH_21rocsparse_index_base_b,"axG",@progbits,_ZN9rocsparseL17sddmm_coox_kernelILi512ELi4ELb0EfllfffEEv20rocsparse_operation_S1_16rocsparse_order_S2_T4_S3_S3_T3_NS_24const_host_device_scalarIT2_EEPKT5_lPKT6_lS7_PT7_PKS4_SH_21rocsparse_index_base_b,comdat
.Lfunc_end32:
	.size	_ZN9rocsparseL17sddmm_coox_kernelILi512ELi4ELb0EfllfffEEv20rocsparse_operation_S1_16rocsparse_order_S2_T4_S3_S3_T3_NS_24const_host_device_scalarIT2_EEPKT5_lPKT6_lS7_PT7_PKS4_SH_21rocsparse_index_base_b, .Lfunc_end32-_ZN9rocsparseL17sddmm_coox_kernelILi512ELi4ELb0EfllfffEEv20rocsparse_operation_S1_16rocsparse_order_S2_T4_S3_S3_T3_NS_24const_host_device_scalarIT2_EEPKT5_lPKT6_lS7_PT7_PKS4_SH_21rocsparse_index_base_b
                                        ; -- End function
	.set _ZN9rocsparseL17sddmm_coox_kernelILi512ELi4ELb0EfllfffEEv20rocsparse_operation_S1_16rocsparse_order_S2_T4_S3_S3_T3_NS_24const_host_device_scalarIT2_EEPKT5_lPKT6_lS7_PT7_PKS4_SH_21rocsparse_index_base_b.num_vgpr, 17
	.set _ZN9rocsparseL17sddmm_coox_kernelILi512ELi4ELb0EfllfffEEv20rocsparse_operation_S1_16rocsparse_order_S2_T4_S3_S3_T3_NS_24const_host_device_scalarIT2_EEPKT5_lPKT6_lS7_PT7_PKS4_SH_21rocsparse_index_base_b.num_agpr, 0
	.set _ZN9rocsparseL17sddmm_coox_kernelILi512ELi4ELb0EfllfffEEv20rocsparse_operation_S1_16rocsparse_order_S2_T4_S3_S3_T3_NS_24const_host_device_scalarIT2_EEPKT5_lPKT6_lS7_PT7_PKS4_SH_21rocsparse_index_base_b.numbered_sgpr, 20
	.set _ZN9rocsparseL17sddmm_coox_kernelILi512ELi4ELb0EfllfffEEv20rocsparse_operation_S1_16rocsparse_order_S2_T4_S3_S3_T3_NS_24const_host_device_scalarIT2_EEPKT5_lPKT6_lS7_PT7_PKS4_SH_21rocsparse_index_base_b.num_named_barrier, 0
	.set _ZN9rocsparseL17sddmm_coox_kernelILi512ELi4ELb0EfllfffEEv20rocsparse_operation_S1_16rocsparse_order_S2_T4_S3_S3_T3_NS_24const_host_device_scalarIT2_EEPKT5_lPKT6_lS7_PT7_PKS4_SH_21rocsparse_index_base_b.private_seg_size, 0
	.set _ZN9rocsparseL17sddmm_coox_kernelILi512ELi4ELb0EfllfffEEv20rocsparse_operation_S1_16rocsparse_order_S2_T4_S3_S3_T3_NS_24const_host_device_scalarIT2_EEPKT5_lPKT6_lS7_PT7_PKS4_SH_21rocsparse_index_base_b.uses_vcc, 1
	.set _ZN9rocsparseL17sddmm_coox_kernelILi512ELi4ELb0EfllfffEEv20rocsparse_operation_S1_16rocsparse_order_S2_T4_S3_S3_T3_NS_24const_host_device_scalarIT2_EEPKT5_lPKT6_lS7_PT7_PKS4_SH_21rocsparse_index_base_b.uses_flat_scratch, 0
	.set _ZN9rocsparseL17sddmm_coox_kernelILi512ELi4ELb0EfllfffEEv20rocsparse_operation_S1_16rocsparse_order_S2_T4_S3_S3_T3_NS_24const_host_device_scalarIT2_EEPKT5_lPKT6_lS7_PT7_PKS4_SH_21rocsparse_index_base_b.has_dyn_sized_stack, 0
	.set _ZN9rocsparseL17sddmm_coox_kernelILi512ELi4ELb0EfllfffEEv20rocsparse_operation_S1_16rocsparse_order_S2_T4_S3_S3_T3_NS_24const_host_device_scalarIT2_EEPKT5_lPKT6_lS7_PT7_PKS4_SH_21rocsparse_index_base_b.has_recursion, 0
	.set _ZN9rocsparseL17sddmm_coox_kernelILi512ELi4ELb0EfllfffEEv20rocsparse_operation_S1_16rocsparse_order_S2_T4_S3_S3_T3_NS_24const_host_device_scalarIT2_EEPKT5_lPKT6_lS7_PT7_PKS4_SH_21rocsparse_index_base_b.has_indirect_call, 0
	.section	.AMDGPU.csdata,"",@progbits
; Kernel info:
; codeLenInByte = 1152
; TotalNumSgprs: 22
; NumVgprs: 17
; ScratchSize: 0
; MemoryBound: 0
; FloatMode: 240
; IeeeMode: 1
; LDSByteSize: 2048 bytes/workgroup (compile time only)
; SGPRBlocks: 0
; VGPRBlocks: 2
; NumSGPRsForWavesPerEU: 22
; NumVGPRsForWavesPerEU: 17
; Occupancy: 16
; WaveLimiterHint : 0
; COMPUTE_PGM_RSRC2:SCRATCH_EN: 0
; COMPUTE_PGM_RSRC2:USER_SGPR: 6
; COMPUTE_PGM_RSRC2:TRAP_HANDLER: 0
; COMPUTE_PGM_RSRC2:TGID_X_EN: 1
; COMPUTE_PGM_RSRC2:TGID_Y_EN: 0
; COMPUTE_PGM_RSRC2:TGID_Z_EN: 0
; COMPUTE_PGM_RSRC2:TIDIG_COMP_CNT: 0
	.section	.text._ZN9rocsparseL17sddmm_coox_kernelILi512ELi2ELb0EfllfffEEv20rocsparse_operation_S1_16rocsparse_order_S2_T4_S3_S3_T3_NS_24const_host_device_scalarIT2_EEPKT5_lPKT6_lS7_PT7_PKS4_SH_21rocsparse_index_base_b,"axG",@progbits,_ZN9rocsparseL17sddmm_coox_kernelILi512ELi2ELb0EfllfffEEv20rocsparse_operation_S1_16rocsparse_order_S2_T4_S3_S3_T3_NS_24const_host_device_scalarIT2_EEPKT5_lPKT6_lS7_PT7_PKS4_SH_21rocsparse_index_base_b,comdat
	.globl	_ZN9rocsparseL17sddmm_coox_kernelILi512ELi2ELb0EfllfffEEv20rocsparse_operation_S1_16rocsparse_order_S2_T4_S3_S3_T3_NS_24const_host_device_scalarIT2_EEPKT5_lPKT6_lS7_PT7_PKS4_SH_21rocsparse_index_base_b ; -- Begin function _ZN9rocsparseL17sddmm_coox_kernelILi512ELi2ELb0EfllfffEEv20rocsparse_operation_S1_16rocsparse_order_S2_T4_S3_S3_T3_NS_24const_host_device_scalarIT2_EEPKT5_lPKT6_lS7_PT7_PKS4_SH_21rocsparse_index_base_b
	.p2align	8
	.type	_ZN9rocsparseL17sddmm_coox_kernelILi512ELi2ELb0EfllfffEEv20rocsparse_operation_S1_16rocsparse_order_S2_T4_S3_S3_T3_NS_24const_host_device_scalarIT2_EEPKT5_lPKT6_lS7_PT7_PKS4_SH_21rocsparse_index_base_b,@function
_ZN9rocsparseL17sddmm_coox_kernelILi512ELi2ELb0EfllfffEEv20rocsparse_operation_S1_16rocsparse_order_S2_T4_S3_S3_T3_NS_24const_host_device_scalarIT2_EEPKT5_lPKT6_lS7_PT7_PKS4_SH_21rocsparse_index_base_b: ; @_ZN9rocsparseL17sddmm_coox_kernelILi512ELi2ELb0EfllfffEEv20rocsparse_operation_S1_16rocsparse_order_S2_T4_S3_S3_T3_NS_24const_host_device_scalarIT2_EEPKT5_lPKT6_lS7_PT7_PKS4_SH_21rocsparse_index_base_b
; %bb.0:
	s_clause 0x2
	s_load_dwordx2 s[18:19], s[4:5], 0x78
	s_load_dwordx2 s[16:17], s[4:5], 0x30
	s_load_dwordx4 s[0:3], s[4:5], 0x50
	s_waitcnt lgkmcnt(0)
	s_bitcmp1_b32 s19, 0
	s_cselect_b32 s7, -1, 0
	s_and_b32 vcc_lo, exec_lo, s7
	s_xor_b32 s7, s7, -1
	s_cbranch_vccnz .LBB33_2
; %bb.1:
	s_load_dword s16, s[16:17], 0x0
.LBB33_2:
	s_andn2_b32 vcc_lo, exec_lo, s7
	s_cbranch_vccnz .LBB33_4
; %bb.3:
	s_load_dword s2, s[2:3], 0x0
.LBB33_4:
	s_waitcnt lgkmcnt(0)
	v_cmp_eq_f32_e64 s3, s16, 0
	v_cmp_eq_f32_e64 s7, s2, 1.0
	s_and_b32 s3, s3, s7
	s_and_b32 vcc_lo, exec_lo, s3
	s_cbranch_vccnz .LBB33_30
; %bb.5:
	s_load_dwordx4 s[8:11], s[4:5], 0x20
	v_lshrrev_b32_e32 v11, 1, v0
	v_mov_b32_e32 v2, 0
	s_mov_b32 s3, exec_lo
	v_lshl_or_b32 v1, s6, 8, v11
	s_waitcnt lgkmcnt(0)
	v_cmpx_gt_i64_e64 s[10:11], v[1:2]
	s_cbranch_execz .LBB33_30
; %bb.6:
	s_load_dwordx4 s[12:15], s[4:5], 0x68
	v_lshlrev_b64 v[3:4], 3, v[1:2]
	s_waitcnt lgkmcnt(0)
	v_add_co_u32 v5, vcc_lo, s12, v3
	v_add_co_ci_u32_e64 v6, null, s13, v4, vcc_lo
	v_add_co_u32 v3, vcc_lo, s14, v3
	v_add_co_ci_u32_e64 v4, null, s15, v4, vcc_lo
	global_load_dwordx2 v[7:8], v[5:6], off
	global_load_dwordx2 v[5:6], v[3:4], off
	s_clause 0x1
	s_load_dwordx4 s[12:15], s[4:5], 0x0
	s_load_dwordx2 s[6:7], s[4:5], 0x40
	s_waitcnt lgkmcnt(0)
	s_cmp_eq_u32 s14, 1
	s_cselect_b32 s3, -1, 0
	s_cmpk_eq_i32 s12, 0x6f
	s_cselect_b32 s17, -1, 0
	s_cmpk_lg_i32 s12, 0x6f
	s_cselect_b32 s10, -1, 0
	s_cmp_lg_u32 s14, 1
	s_waitcnt vmcnt(1)
	v_sub_co_u32 v7, vcc_lo, v7, s18
	v_subrev_co_ci_u32_e64 v8, null, 0, v8, vcc_lo
	s_cbranch_scc0 .LBB33_10
; %bb.7:
	v_mov_b32_e32 v3, v7
	v_mov_b32_e32 v4, v8
	s_andn2_b32 vcc_lo, exec_lo, s17
	s_cbranch_vccnz .LBB33_9
; %bb.8:
	v_mul_lo_u32 v9, v8, s6
	v_mul_lo_u32 v10, v7, s7
	v_mad_u64_u32 v[3:4], null, v7, s6, 0
	v_add3_u32 v4, v4, v10, v9
.LBB33_9:
	s_cbranch_execz .LBB33_11
	s_branch .LBB33_14
.LBB33_10:
                                        ; implicit-def: $vgpr3_vgpr4
.LBB33_11:
	s_andn2_b32 vcc_lo, exec_lo, s10
	s_cbranch_vccnz .LBB33_13
; %bb.12:
	v_mul_lo_u32 v3, v8, s6
	v_mul_lo_u32 v4, v7, s7
	v_mad_u64_u32 v[7:8], null, v7, s6, 0
	v_add3_u32 v8, v8, v4, v3
.LBB33_13:
	v_mov_b32_e32 v3, v7
	v_mov_b32_e32 v4, v8
.LBB33_14:
	s_cmp_eq_u32 s15, 1
	s_waitcnt vmcnt(0)
	v_sub_co_u32 v5, vcc_lo, v5, s18
	s_cselect_b32 s14, -1, 0
	s_cmpk_eq_i32 s13, 0x6f
	v_subrev_co_ci_u32_e64 v6, null, 0, v6, vcc_lo
	s_cselect_b32 s19, -1, 0
	s_cmpk_lg_i32 s13, 0x6f
	s_cselect_b32 s10, -1, 0
	s_cmp_lg_u32 s15, 1
	s_cbranch_scc0 .LBB33_18
; %bb.15:
	v_mov_b32_e32 v8, v6
	v_mov_b32_e32 v7, v5
	s_andn2_b32 vcc_lo, exec_lo, s10
	s_cbranch_vccnz .LBB33_17
; %bb.16:
	v_mul_lo_u32 v9, v6, s0
	v_mul_lo_u32 v10, v5, s1
	v_mad_u64_u32 v[7:8], null, v5, s0, 0
	v_add3_u32 v8, v8, v10, v9
.LBB33_17:
	s_cbranch_execz .LBB33_19
	s_branch .LBB33_22
.LBB33_18:
                                        ; implicit-def: $vgpr7_vgpr8
.LBB33_19:
	s_andn2_b32 vcc_lo, exec_lo, s19
	s_cbranch_vccnz .LBB33_21
; %bb.20:
	v_mul_lo_u32 v7, v6, s0
	v_mul_lo_u32 v8, v5, s1
	v_mad_u64_u32 v[5:6], null, v5, s0, 0
	v_add3_u32 v6, v6, v8, v7
.LBB33_21:
	v_mov_b32_e32 v8, v6
	v_mov_b32_e32 v7, v5
.LBB33_22:
	s_load_dwordx2 s[10:11], s[4:5], 0x60
	v_and_b32_e32 v5, 1, v0
	v_mov_b32_e32 v6, 0
	s_mov_b32 s12, exec_lo
	v_cmpx_gt_i64_e64 s[8:9], v[5:6]
	s_cbranch_execz .LBB33_26
; %bb.23:
	s_xor_b32 s3, s17, s3
	v_lshlrev_b64 v[7:8], 2, v[7:8]
	s_and_b32 s3, s3, exec_lo
	s_cselect_b32 s7, 0, s7
	s_cselect_b32 s6, 1, s6
	s_xor_b32 s3, s19, s14
	s_load_dwordx2 s[14:15], s[4:5], 0x48
	s_and_b32 s3, s3, exec_lo
	s_cselect_b32 s19, s1, 0
	s_cselect_b32 s18, s0, 1
	v_mul_lo_u32 v10, s19, v5
	v_mul_lo_u32 v9, s18, v5
	s_load_dwordx2 s[0:1], s[4:5], 0x38
	v_mul_lo_u32 v13, s7, v5
	v_mul_lo_u32 v12, s6, v5
	v_lshlrev_b64 v[14:15], 2, v[3:4]
	s_lshl_b64 s[4:5], s[18:19], 3
	s_lshl_b64 s[6:7], s[6:7], 3
	v_lshlrev_b64 v[9:10], 2, v[9:10]
	v_add_co_u32 v0, vcc_lo, v9, v7
	v_add_co_ci_u32_e64 v4, null, v10, v8, vcc_lo
	v_lshlrev_b64 v[7:8], 2, v[12:13]
	s_waitcnt lgkmcnt(0)
	v_add_co_u32 v3, vcc_lo, s14, v0
	v_add_co_ci_u32_e64 v4, null, s15, v4, vcc_lo
	v_mov_b32_e32 v12, 0
	v_add_co_u32 v0, vcc_lo, v7, v14
	v_add_co_ci_u32_e64 v8, null, v8, v15, vcc_lo
	v_mov_b32_e32 v10, v6
	;; [unrolled: 3-line block ×3, first 2 shown]
	v_mov_b32_e32 v6, v12
	s_mov_b32 s1, 0
	.p2align	6
.LBB33_24:                              ; =>This Inner Loop Header: Depth=1
	global_load_dword v0, v[7:8], off
	global_load_dword v12, v[3:4], off
	v_add_co_u32 v9, vcc_lo, v9, 2
	v_add_co_ci_u32_e64 v10, null, 0, v10, vcc_lo
	v_add_co_u32 v3, vcc_lo, v3, s4
	v_add_co_ci_u32_e64 v4, null, s5, v4, vcc_lo
	v_cmp_le_i64_e32 vcc_lo, s[8:9], v[9:10]
	v_add_co_u32 v7, s0, v7, s6
	v_add_co_ci_u32_e64 v8, null, s7, v8, s0
	s_or_b32 s1, vcc_lo, s1
	s_waitcnt vmcnt(0)
	v_fmac_f32_e32 v6, v0, v12
	s_andn2_b32 exec_lo, exec_lo, s1
	s_cbranch_execnz .LBB33_24
; %bb.25:
	s_or_b32 exec_lo, exec_lo, s1
.LBB33_26:
	s_or_b32 exec_lo, exec_lo, s12
	v_lshlrev_b32_e32 v0, 3, v11
	v_cmp_eq_u32_e32 vcc_lo, 0, v5
	v_lshl_or_b32 v3, v5, 2, v0
	ds_write_b32 v3, v6
	s_waitcnt lgkmcnt(0)
	s_barrier
	buffer_gl0_inv
	s_and_saveexec_b32 s0, vcc_lo
	s_cbranch_execz .LBB33_28
; %bb.27:
	ds_read_b32 v4, v0 offset:4
	ds_read_b32 v5, v3
	s_waitcnt lgkmcnt(0)
	v_add_f32_e32 v4, v4, v5
	ds_write_b32 v3, v4
.LBB33_28:
	s_or_b32 exec_lo, exec_lo, s0
	s_waitcnt lgkmcnt(0)
	s_barrier
	buffer_gl0_inv
	s_and_b32 exec_lo, exec_lo, vcc_lo
	s_cbranch_execz .LBB33_30
; %bb.29:
	v_lshlrev_b64 v[1:2], 2, v[1:2]
	ds_read_b32 v0, v0
	v_add_co_u32 v1, vcc_lo, s10, v1
	v_add_co_ci_u32_e64 v2, null, s11, v2, vcc_lo
	global_load_dword v3, v[1:2], off
	s_waitcnt lgkmcnt(0)
	v_mul_f32_e32 v0, s16, v0
	s_waitcnt vmcnt(0)
	v_fmac_f32_e32 v0, s2, v3
	global_store_dword v[1:2], v0, off
.LBB33_30:
	s_endpgm
	.section	.rodata,"a",@progbits
	.p2align	6, 0x0
	.amdhsa_kernel _ZN9rocsparseL17sddmm_coox_kernelILi512ELi2ELb0EfllfffEEv20rocsparse_operation_S1_16rocsparse_order_S2_T4_S3_S3_T3_NS_24const_host_device_scalarIT2_EEPKT5_lPKT6_lS7_PT7_PKS4_SH_21rocsparse_index_base_b
		.amdhsa_group_segment_fixed_size 2048
		.amdhsa_private_segment_fixed_size 0
		.amdhsa_kernarg_size 128
		.amdhsa_user_sgpr_count 6
		.amdhsa_user_sgpr_private_segment_buffer 1
		.amdhsa_user_sgpr_dispatch_ptr 0
		.amdhsa_user_sgpr_queue_ptr 0
		.amdhsa_user_sgpr_kernarg_segment_ptr 1
		.amdhsa_user_sgpr_dispatch_id 0
		.amdhsa_user_sgpr_flat_scratch_init 0
		.amdhsa_user_sgpr_private_segment_size 0
		.amdhsa_wavefront_size32 1
		.amdhsa_uses_dynamic_stack 0
		.amdhsa_system_sgpr_private_segment_wavefront_offset 0
		.amdhsa_system_sgpr_workgroup_id_x 1
		.amdhsa_system_sgpr_workgroup_id_y 0
		.amdhsa_system_sgpr_workgroup_id_z 0
		.amdhsa_system_sgpr_workgroup_info 0
		.amdhsa_system_vgpr_workitem_id 0
		.amdhsa_next_free_vgpr 16
		.amdhsa_next_free_sgpr 20
		.amdhsa_reserve_vcc 1
		.amdhsa_reserve_flat_scratch 0
		.amdhsa_float_round_mode_32 0
		.amdhsa_float_round_mode_16_64 0
		.amdhsa_float_denorm_mode_32 3
		.amdhsa_float_denorm_mode_16_64 3
		.amdhsa_dx10_clamp 1
		.amdhsa_ieee_mode 1
		.amdhsa_fp16_overflow 0
		.amdhsa_workgroup_processor_mode 1
		.amdhsa_memory_ordered 1
		.amdhsa_forward_progress 1
		.amdhsa_shared_vgpr_count 0
		.amdhsa_exception_fp_ieee_invalid_op 0
		.amdhsa_exception_fp_denorm_src 0
		.amdhsa_exception_fp_ieee_div_zero 0
		.amdhsa_exception_fp_ieee_overflow 0
		.amdhsa_exception_fp_ieee_underflow 0
		.amdhsa_exception_fp_ieee_inexact 0
		.amdhsa_exception_int_div_zero 0
	.end_amdhsa_kernel
	.section	.text._ZN9rocsparseL17sddmm_coox_kernelILi512ELi2ELb0EfllfffEEv20rocsparse_operation_S1_16rocsparse_order_S2_T4_S3_S3_T3_NS_24const_host_device_scalarIT2_EEPKT5_lPKT6_lS7_PT7_PKS4_SH_21rocsparse_index_base_b,"axG",@progbits,_ZN9rocsparseL17sddmm_coox_kernelILi512ELi2ELb0EfllfffEEv20rocsparse_operation_S1_16rocsparse_order_S2_T4_S3_S3_T3_NS_24const_host_device_scalarIT2_EEPKT5_lPKT6_lS7_PT7_PKS4_SH_21rocsparse_index_base_b,comdat
.Lfunc_end33:
	.size	_ZN9rocsparseL17sddmm_coox_kernelILi512ELi2ELb0EfllfffEEv20rocsparse_operation_S1_16rocsparse_order_S2_T4_S3_S3_T3_NS_24const_host_device_scalarIT2_EEPKT5_lPKT6_lS7_PT7_PKS4_SH_21rocsparse_index_base_b, .Lfunc_end33-_ZN9rocsparseL17sddmm_coox_kernelILi512ELi2ELb0EfllfffEEv20rocsparse_operation_S1_16rocsparse_order_S2_T4_S3_S3_T3_NS_24const_host_device_scalarIT2_EEPKT5_lPKT6_lS7_PT7_PKS4_SH_21rocsparse_index_base_b
                                        ; -- End function
	.set _ZN9rocsparseL17sddmm_coox_kernelILi512ELi2ELb0EfllfffEEv20rocsparse_operation_S1_16rocsparse_order_S2_T4_S3_S3_T3_NS_24const_host_device_scalarIT2_EEPKT5_lPKT6_lS7_PT7_PKS4_SH_21rocsparse_index_base_b.num_vgpr, 16
	.set _ZN9rocsparseL17sddmm_coox_kernelILi512ELi2ELb0EfllfffEEv20rocsparse_operation_S1_16rocsparse_order_S2_T4_S3_S3_T3_NS_24const_host_device_scalarIT2_EEPKT5_lPKT6_lS7_PT7_PKS4_SH_21rocsparse_index_base_b.num_agpr, 0
	.set _ZN9rocsparseL17sddmm_coox_kernelILi512ELi2ELb0EfllfffEEv20rocsparse_operation_S1_16rocsparse_order_S2_T4_S3_S3_T3_NS_24const_host_device_scalarIT2_EEPKT5_lPKT6_lS7_PT7_PKS4_SH_21rocsparse_index_base_b.numbered_sgpr, 20
	.set _ZN9rocsparseL17sddmm_coox_kernelILi512ELi2ELb0EfllfffEEv20rocsparse_operation_S1_16rocsparse_order_S2_T4_S3_S3_T3_NS_24const_host_device_scalarIT2_EEPKT5_lPKT6_lS7_PT7_PKS4_SH_21rocsparse_index_base_b.num_named_barrier, 0
	.set _ZN9rocsparseL17sddmm_coox_kernelILi512ELi2ELb0EfllfffEEv20rocsparse_operation_S1_16rocsparse_order_S2_T4_S3_S3_T3_NS_24const_host_device_scalarIT2_EEPKT5_lPKT6_lS7_PT7_PKS4_SH_21rocsparse_index_base_b.private_seg_size, 0
	.set _ZN9rocsparseL17sddmm_coox_kernelILi512ELi2ELb0EfllfffEEv20rocsparse_operation_S1_16rocsparse_order_S2_T4_S3_S3_T3_NS_24const_host_device_scalarIT2_EEPKT5_lPKT6_lS7_PT7_PKS4_SH_21rocsparse_index_base_b.uses_vcc, 1
	.set _ZN9rocsparseL17sddmm_coox_kernelILi512ELi2ELb0EfllfffEEv20rocsparse_operation_S1_16rocsparse_order_S2_T4_S3_S3_T3_NS_24const_host_device_scalarIT2_EEPKT5_lPKT6_lS7_PT7_PKS4_SH_21rocsparse_index_base_b.uses_flat_scratch, 0
	.set _ZN9rocsparseL17sddmm_coox_kernelILi512ELi2ELb0EfllfffEEv20rocsparse_operation_S1_16rocsparse_order_S2_T4_S3_S3_T3_NS_24const_host_device_scalarIT2_EEPKT5_lPKT6_lS7_PT7_PKS4_SH_21rocsparse_index_base_b.has_dyn_sized_stack, 0
	.set _ZN9rocsparseL17sddmm_coox_kernelILi512ELi2ELb0EfllfffEEv20rocsparse_operation_S1_16rocsparse_order_S2_T4_S3_S3_T3_NS_24const_host_device_scalarIT2_EEPKT5_lPKT6_lS7_PT7_PKS4_SH_21rocsparse_index_base_b.has_recursion, 0
	.set _ZN9rocsparseL17sddmm_coox_kernelILi512ELi2ELb0EfllfffEEv20rocsparse_operation_S1_16rocsparse_order_S2_T4_S3_S3_T3_NS_24const_host_device_scalarIT2_EEPKT5_lPKT6_lS7_PT7_PKS4_SH_21rocsparse_index_base_b.has_indirect_call, 0
	.section	.AMDGPU.csdata,"",@progbits
; Kernel info:
; codeLenInByte = 1104
; TotalNumSgprs: 22
; NumVgprs: 16
; ScratchSize: 0
; MemoryBound: 0
; FloatMode: 240
; IeeeMode: 1
; LDSByteSize: 2048 bytes/workgroup (compile time only)
; SGPRBlocks: 0
; VGPRBlocks: 1
; NumSGPRsForWavesPerEU: 22
; NumVGPRsForWavesPerEU: 16
; Occupancy: 16
; WaveLimiterHint : 0
; COMPUTE_PGM_RSRC2:SCRATCH_EN: 0
; COMPUTE_PGM_RSRC2:USER_SGPR: 6
; COMPUTE_PGM_RSRC2:TRAP_HANDLER: 0
; COMPUTE_PGM_RSRC2:TGID_X_EN: 1
; COMPUTE_PGM_RSRC2:TGID_Y_EN: 0
; COMPUTE_PGM_RSRC2:TGID_Z_EN: 0
; COMPUTE_PGM_RSRC2:TIDIG_COMP_CNT: 0
	.section	.text._ZN9rocsparseL17sddmm_coox_kernelILi512ELi1ELb0EfllfffEEv20rocsparse_operation_S1_16rocsparse_order_S2_T4_S3_S3_T3_NS_24const_host_device_scalarIT2_EEPKT5_lPKT6_lS7_PT7_PKS4_SH_21rocsparse_index_base_b,"axG",@progbits,_ZN9rocsparseL17sddmm_coox_kernelILi512ELi1ELb0EfllfffEEv20rocsparse_operation_S1_16rocsparse_order_S2_T4_S3_S3_T3_NS_24const_host_device_scalarIT2_EEPKT5_lPKT6_lS7_PT7_PKS4_SH_21rocsparse_index_base_b,comdat
	.globl	_ZN9rocsparseL17sddmm_coox_kernelILi512ELi1ELb0EfllfffEEv20rocsparse_operation_S1_16rocsparse_order_S2_T4_S3_S3_T3_NS_24const_host_device_scalarIT2_EEPKT5_lPKT6_lS7_PT7_PKS4_SH_21rocsparse_index_base_b ; -- Begin function _ZN9rocsparseL17sddmm_coox_kernelILi512ELi1ELb0EfllfffEEv20rocsparse_operation_S1_16rocsparse_order_S2_T4_S3_S3_T3_NS_24const_host_device_scalarIT2_EEPKT5_lPKT6_lS7_PT7_PKS4_SH_21rocsparse_index_base_b
	.p2align	8
	.type	_ZN9rocsparseL17sddmm_coox_kernelILi512ELi1ELb0EfllfffEEv20rocsparse_operation_S1_16rocsparse_order_S2_T4_S3_S3_T3_NS_24const_host_device_scalarIT2_EEPKT5_lPKT6_lS7_PT7_PKS4_SH_21rocsparse_index_base_b,@function
_ZN9rocsparseL17sddmm_coox_kernelILi512ELi1ELb0EfllfffEEv20rocsparse_operation_S1_16rocsparse_order_S2_T4_S3_S3_T3_NS_24const_host_device_scalarIT2_EEPKT5_lPKT6_lS7_PT7_PKS4_SH_21rocsparse_index_base_b: ; @_ZN9rocsparseL17sddmm_coox_kernelILi512ELi1ELb0EfllfffEEv20rocsparse_operation_S1_16rocsparse_order_S2_T4_S3_S3_T3_NS_24const_host_device_scalarIT2_EEPKT5_lPKT6_lS7_PT7_PKS4_SH_21rocsparse_index_base_b
; %bb.0:
	s_clause 0x2
	s_load_dwordx2 s[18:19], s[4:5], 0x78
	s_load_dwordx2 s[16:17], s[4:5], 0x30
	s_load_dwordx4 s[0:3], s[4:5], 0x50
	s_waitcnt lgkmcnt(0)
	s_bitcmp1_b32 s19, 0
	s_cselect_b32 s7, -1, 0
	s_and_b32 vcc_lo, exec_lo, s7
	s_xor_b32 s7, s7, -1
	s_cbranch_vccnz .LBB34_2
; %bb.1:
	s_load_dword s16, s[16:17], 0x0
.LBB34_2:
	s_andn2_b32 vcc_lo, exec_lo, s7
	s_cbranch_vccnz .LBB34_4
; %bb.3:
	s_load_dword s2, s[2:3], 0x0
.LBB34_4:
	s_waitcnt lgkmcnt(0)
	v_cmp_eq_f32_e64 s3, s16, 0
	v_cmp_eq_f32_e64 s7, s2, 1.0
	s_and_b32 s3, s3, s7
	s_and_b32 vcc_lo, exec_lo, s3
	s_cbranch_vccnz .LBB34_27
; %bb.5:
	s_load_dwordx4 s[8:11], s[4:5], 0x20
	v_lshl_or_b32 v1, s6, 9, v0
	v_mov_b32_e32 v2, 0
	s_mov_b32 s3, exec_lo
	s_waitcnt lgkmcnt(0)
	v_cmpx_gt_i64_e64 s[10:11], v[1:2]
	s_cbranch_execz .LBB34_27
; %bb.6:
	s_load_dwordx4 s[12:15], s[4:5], 0x68
	v_lshlrev_b64 v[3:4], 3, v[1:2]
	s_waitcnt lgkmcnt(0)
	v_add_co_u32 v5, vcc_lo, s12, v3
	v_add_co_ci_u32_e64 v6, null, s13, v4, vcc_lo
	v_add_co_u32 v3, vcc_lo, s14, v3
	v_add_co_ci_u32_e64 v4, null, s15, v4, vcc_lo
	global_load_dwordx2 v[7:8], v[5:6], off
	global_load_dwordx2 v[5:6], v[3:4], off
	s_clause 0x1
	s_load_dwordx4 s[12:15], s[4:5], 0x0
	s_load_dwordx2 s[6:7], s[4:5], 0x40
	s_waitcnt lgkmcnt(0)
	s_cmp_eq_u32 s14, 1
	s_cselect_b32 s3, -1, 0
	s_cmpk_eq_i32 s12, 0x6f
	s_cselect_b32 s17, -1, 0
	s_cmpk_lg_i32 s12, 0x6f
	s_cselect_b32 s10, -1, 0
	s_cmp_lg_u32 s14, 1
	s_waitcnt vmcnt(1)
	v_sub_co_u32 v7, vcc_lo, v7, s18
	v_subrev_co_ci_u32_e64 v8, null, 0, v8, vcc_lo
	s_cbranch_scc0 .LBB34_10
; %bb.7:
	v_mov_b32_e32 v3, v7
	v_mov_b32_e32 v4, v8
	s_andn2_b32 vcc_lo, exec_lo, s17
	s_cbranch_vccnz .LBB34_9
; %bb.8:
	v_mul_lo_u32 v9, v8, s6
	v_mul_lo_u32 v10, v7, s7
	v_mad_u64_u32 v[3:4], null, v7, s6, 0
	v_add3_u32 v4, v4, v10, v9
.LBB34_9:
	s_cbranch_execz .LBB34_11
	s_branch .LBB34_14
.LBB34_10:
                                        ; implicit-def: $vgpr3_vgpr4
.LBB34_11:
	s_andn2_b32 vcc_lo, exec_lo, s10
	s_cbranch_vccnz .LBB34_13
; %bb.12:
	v_mul_lo_u32 v3, v8, s6
	v_mul_lo_u32 v4, v7, s7
	v_mad_u64_u32 v[7:8], null, v7, s6, 0
	v_add3_u32 v8, v8, v4, v3
.LBB34_13:
	v_mov_b32_e32 v3, v7
	v_mov_b32_e32 v4, v8
.LBB34_14:
	s_cmp_eq_u32 s15, 1
	s_waitcnt vmcnt(0)
	v_sub_co_u32 v5, vcc_lo, v5, s18
	s_cselect_b32 s12, -1, 0
	s_cmpk_eq_i32 s13, 0x6f
	v_subrev_co_ci_u32_e64 v6, null, 0, v6, vcc_lo
	s_cselect_b32 s14, -1, 0
	s_cmpk_lg_i32 s13, 0x6f
	s_cselect_b32 s10, -1, 0
	s_cmp_lg_u32 s15, 1
	s_cbranch_scc0 .LBB34_21
; %bb.15:
	v_mov_b32_e32 v8, v6
	v_mov_b32_e32 v7, v5
	s_andn2_b32 vcc_lo, exec_lo, s10
	s_cbranch_vccnz .LBB34_17
; %bb.16:
	v_mul_lo_u32 v9, v6, s0
	v_mul_lo_u32 v10, v5, s1
	v_mad_u64_u32 v[7:8], null, v5, s0, 0
	v_add3_u32 v8, v8, v10, v9
.LBB34_17:
	s_cbranch_execz .LBB34_22
; %bb.18:
	s_load_dwordx2 s[10:11], s[4:5], 0x60
	v_cmp_lt_i64_e64 s13, s[8:9], 1
	s_and_b32 vcc_lo, exec_lo, s13
	s_cbranch_vccnz .LBB34_25
.LBB34_19:
	s_clause 0x1
	s_load_dwordx2 s[18:19], s[4:5], 0x48
	s_load_dwordx2 s[4:5], s[4:5], 0x38
	v_lshlrev_b64 v[5:6], 2, v[7:8]
	v_lshlrev_b64 v[7:8], 2, v[3:4]
	s_xor_b32 s3, s17, s3
	s_and_b32 s3, s3, exec_lo
	s_cselect_b32 s7, 0, s7
	s_cselect_b32 s6, 1, s6
	s_xor_b32 s3, s14, s12
	s_and_b32 s3, s3, exec_lo
	s_cselect_b32 s1, s1, 0
	s_cselect_b32 s0, s0, 1
	s_lshl_b64 s[0:1], s[0:1], 2
	s_waitcnt lgkmcnt(0)
	v_add_co_u32 v3, vcc_lo, s18, v5
	v_add_co_ci_u32_e64 v4, null, s19, v6, vcc_lo
	v_add_co_u32 v5, vcc_lo, s4, v7
	v_add_co_ci_u32_e64 v6, null, s5, v8, vcc_lo
	v_mov_b32_e32 v7, 0
	s_lshl_b64 s[4:5], s[6:7], 2
	.p2align	6
.LBB34_20:                              ; =>This Inner Loop Header: Depth=1
	global_load_dword v8, v[5:6], off
	global_load_dword v9, v[3:4], off
	v_add_co_u32 v3, vcc_lo, v3, s0
	v_add_co_ci_u32_e64 v4, null, s1, v4, vcc_lo
	v_add_co_u32 v5, vcc_lo, v5, s4
	s_add_u32 s8, s8, -1
	v_add_co_ci_u32_e64 v6, null, s5, v6, vcc_lo
	s_addc_u32 s9, s9, -1
	s_cmp_eq_u64 s[8:9], 0
	s_waitcnt vmcnt(0)
	v_fmac_f32_e32 v7, v8, v9
	s_cbranch_scc0 .LBB34_20
	s_branch .LBB34_26
.LBB34_21:
                                        ; implicit-def: $vgpr7_vgpr8
.LBB34_22:
	s_andn2_b32 vcc_lo, exec_lo, s14
	s_cbranch_vccnz .LBB34_24
; %bb.23:
	v_mul_lo_u32 v7, v6, s0
	v_mul_lo_u32 v8, v5, s1
	v_mad_u64_u32 v[5:6], null, v5, s0, 0
	v_add3_u32 v6, v6, v8, v7
.LBB34_24:
	v_mov_b32_e32 v8, v6
	v_mov_b32_e32 v7, v5
	s_load_dwordx2 s[10:11], s[4:5], 0x60
	v_cmp_lt_i64_e64 s13, s[8:9], 1
	s_and_b32 vcc_lo, exec_lo, s13
	s_cbranch_vccz .LBB34_19
.LBB34_25:
	v_mov_b32_e32 v7, 0
.LBB34_26:
	v_lshlrev_b64 v[1:2], 2, v[1:2]
	v_lshlrev_b32_e32 v3, 2, v0
	ds_write_b32 v3, v7
	s_waitcnt lgkmcnt(0)
	v_add_co_u32 v0, vcc_lo, s10, v1
	v_add_co_ci_u32_e64 v1, null, s11, v2, vcc_lo
	s_barrier
	buffer_gl0_inv
	global_load_dword v2, v[0:1], off
	ds_read_b32 v3, v3
	s_waitcnt lgkmcnt(0)
	v_mul_f32_e32 v3, s16, v3
	s_waitcnt vmcnt(0)
	v_fmac_f32_e32 v3, s2, v2
	global_store_dword v[0:1], v3, off
.LBB34_27:
	s_endpgm
	.section	.rodata,"a",@progbits
	.p2align	6, 0x0
	.amdhsa_kernel _ZN9rocsparseL17sddmm_coox_kernelILi512ELi1ELb0EfllfffEEv20rocsparse_operation_S1_16rocsparse_order_S2_T4_S3_S3_T3_NS_24const_host_device_scalarIT2_EEPKT5_lPKT6_lS7_PT7_PKS4_SH_21rocsparse_index_base_b
		.amdhsa_group_segment_fixed_size 2048
		.amdhsa_private_segment_fixed_size 0
		.amdhsa_kernarg_size 128
		.amdhsa_user_sgpr_count 6
		.amdhsa_user_sgpr_private_segment_buffer 1
		.amdhsa_user_sgpr_dispatch_ptr 0
		.amdhsa_user_sgpr_queue_ptr 0
		.amdhsa_user_sgpr_kernarg_segment_ptr 1
		.amdhsa_user_sgpr_dispatch_id 0
		.amdhsa_user_sgpr_flat_scratch_init 0
		.amdhsa_user_sgpr_private_segment_size 0
		.amdhsa_wavefront_size32 1
		.amdhsa_uses_dynamic_stack 0
		.amdhsa_system_sgpr_private_segment_wavefront_offset 0
		.amdhsa_system_sgpr_workgroup_id_x 1
		.amdhsa_system_sgpr_workgroup_id_y 0
		.amdhsa_system_sgpr_workgroup_id_z 0
		.amdhsa_system_sgpr_workgroup_info 0
		.amdhsa_system_vgpr_workitem_id 0
		.amdhsa_next_free_vgpr 11
		.amdhsa_next_free_sgpr 20
		.amdhsa_reserve_vcc 1
		.amdhsa_reserve_flat_scratch 0
		.amdhsa_float_round_mode_32 0
		.amdhsa_float_round_mode_16_64 0
		.amdhsa_float_denorm_mode_32 3
		.amdhsa_float_denorm_mode_16_64 3
		.amdhsa_dx10_clamp 1
		.amdhsa_ieee_mode 1
		.amdhsa_fp16_overflow 0
		.amdhsa_workgroup_processor_mode 1
		.amdhsa_memory_ordered 1
		.amdhsa_forward_progress 1
		.amdhsa_shared_vgpr_count 0
		.amdhsa_exception_fp_ieee_invalid_op 0
		.amdhsa_exception_fp_denorm_src 0
		.amdhsa_exception_fp_ieee_div_zero 0
		.amdhsa_exception_fp_ieee_overflow 0
		.amdhsa_exception_fp_ieee_underflow 0
		.amdhsa_exception_fp_ieee_inexact 0
		.amdhsa_exception_int_div_zero 0
	.end_amdhsa_kernel
	.section	.text._ZN9rocsparseL17sddmm_coox_kernelILi512ELi1ELb0EfllfffEEv20rocsparse_operation_S1_16rocsparse_order_S2_T4_S3_S3_T3_NS_24const_host_device_scalarIT2_EEPKT5_lPKT6_lS7_PT7_PKS4_SH_21rocsparse_index_base_b,"axG",@progbits,_ZN9rocsparseL17sddmm_coox_kernelILi512ELi1ELb0EfllfffEEv20rocsparse_operation_S1_16rocsparse_order_S2_T4_S3_S3_T3_NS_24const_host_device_scalarIT2_EEPKT5_lPKT6_lS7_PT7_PKS4_SH_21rocsparse_index_base_b,comdat
.Lfunc_end34:
	.size	_ZN9rocsparseL17sddmm_coox_kernelILi512ELi1ELb0EfllfffEEv20rocsparse_operation_S1_16rocsparse_order_S2_T4_S3_S3_T3_NS_24const_host_device_scalarIT2_EEPKT5_lPKT6_lS7_PT7_PKS4_SH_21rocsparse_index_base_b, .Lfunc_end34-_ZN9rocsparseL17sddmm_coox_kernelILi512ELi1ELb0EfllfffEEv20rocsparse_operation_S1_16rocsparse_order_S2_T4_S3_S3_T3_NS_24const_host_device_scalarIT2_EEPKT5_lPKT6_lS7_PT7_PKS4_SH_21rocsparse_index_base_b
                                        ; -- End function
	.set _ZN9rocsparseL17sddmm_coox_kernelILi512ELi1ELb0EfllfffEEv20rocsparse_operation_S1_16rocsparse_order_S2_T4_S3_S3_T3_NS_24const_host_device_scalarIT2_EEPKT5_lPKT6_lS7_PT7_PKS4_SH_21rocsparse_index_base_b.num_vgpr, 11
	.set _ZN9rocsparseL17sddmm_coox_kernelILi512ELi1ELb0EfllfffEEv20rocsparse_operation_S1_16rocsparse_order_S2_T4_S3_S3_T3_NS_24const_host_device_scalarIT2_EEPKT5_lPKT6_lS7_PT7_PKS4_SH_21rocsparse_index_base_b.num_agpr, 0
	.set _ZN9rocsparseL17sddmm_coox_kernelILi512ELi1ELb0EfllfffEEv20rocsparse_operation_S1_16rocsparse_order_S2_T4_S3_S3_T3_NS_24const_host_device_scalarIT2_EEPKT5_lPKT6_lS7_PT7_PKS4_SH_21rocsparse_index_base_b.numbered_sgpr, 20
	.set _ZN9rocsparseL17sddmm_coox_kernelILi512ELi1ELb0EfllfffEEv20rocsparse_operation_S1_16rocsparse_order_S2_T4_S3_S3_T3_NS_24const_host_device_scalarIT2_EEPKT5_lPKT6_lS7_PT7_PKS4_SH_21rocsparse_index_base_b.num_named_barrier, 0
	.set _ZN9rocsparseL17sddmm_coox_kernelILi512ELi1ELb0EfllfffEEv20rocsparse_operation_S1_16rocsparse_order_S2_T4_S3_S3_T3_NS_24const_host_device_scalarIT2_EEPKT5_lPKT6_lS7_PT7_PKS4_SH_21rocsparse_index_base_b.private_seg_size, 0
	.set _ZN9rocsparseL17sddmm_coox_kernelILi512ELi1ELb0EfllfffEEv20rocsparse_operation_S1_16rocsparse_order_S2_T4_S3_S3_T3_NS_24const_host_device_scalarIT2_EEPKT5_lPKT6_lS7_PT7_PKS4_SH_21rocsparse_index_base_b.uses_vcc, 1
	.set _ZN9rocsparseL17sddmm_coox_kernelILi512ELi1ELb0EfllfffEEv20rocsparse_operation_S1_16rocsparse_order_S2_T4_S3_S3_T3_NS_24const_host_device_scalarIT2_EEPKT5_lPKT6_lS7_PT7_PKS4_SH_21rocsparse_index_base_b.uses_flat_scratch, 0
	.set _ZN9rocsparseL17sddmm_coox_kernelILi512ELi1ELb0EfllfffEEv20rocsparse_operation_S1_16rocsparse_order_S2_T4_S3_S3_T3_NS_24const_host_device_scalarIT2_EEPKT5_lPKT6_lS7_PT7_PKS4_SH_21rocsparse_index_base_b.has_dyn_sized_stack, 0
	.set _ZN9rocsparseL17sddmm_coox_kernelILi512ELi1ELb0EfllfffEEv20rocsparse_operation_S1_16rocsparse_order_S2_T4_S3_S3_T3_NS_24const_host_device_scalarIT2_EEPKT5_lPKT6_lS7_PT7_PKS4_SH_21rocsparse_index_base_b.has_recursion, 0
	.set _ZN9rocsparseL17sddmm_coox_kernelILi512ELi1ELb0EfllfffEEv20rocsparse_operation_S1_16rocsparse_order_S2_T4_S3_S3_T3_NS_24const_host_device_scalarIT2_EEPKT5_lPKT6_lS7_PT7_PKS4_SH_21rocsparse_index_base_b.has_indirect_call, 0
	.section	.AMDGPU.csdata,"",@progbits
; Kernel info:
; codeLenInByte = 888
; TotalNumSgprs: 22
; NumVgprs: 11
; ScratchSize: 0
; MemoryBound: 0
; FloatMode: 240
; IeeeMode: 1
; LDSByteSize: 2048 bytes/workgroup (compile time only)
; SGPRBlocks: 0
; VGPRBlocks: 1
; NumSGPRsForWavesPerEU: 22
; NumVGPRsForWavesPerEU: 11
; Occupancy: 16
; WaveLimiterHint : 0
; COMPUTE_PGM_RSRC2:SCRATCH_EN: 0
; COMPUTE_PGM_RSRC2:USER_SGPR: 6
; COMPUTE_PGM_RSRC2:TRAP_HANDLER: 0
; COMPUTE_PGM_RSRC2:TGID_X_EN: 1
; COMPUTE_PGM_RSRC2:TGID_Y_EN: 0
; COMPUTE_PGM_RSRC2:TGID_Z_EN: 0
; COMPUTE_PGM_RSRC2:TIDIG_COMP_CNT: 0
	.section	.text._ZN9rocsparseL24sddmm_coox_sample_kernelILi512ELb0EdlldEEvT3_S1_T2_PKT4_S1_PS3_PKS2_S8_21rocsparse_index_base_,"axG",@progbits,_ZN9rocsparseL24sddmm_coox_sample_kernelILi512ELb0EdlldEEvT3_S1_T2_PKT4_S1_PS3_PKS2_S8_21rocsparse_index_base_,comdat
	.globl	_ZN9rocsparseL24sddmm_coox_sample_kernelILi512ELb0EdlldEEvT3_S1_T2_PKT4_S1_PS3_PKS2_S8_21rocsparse_index_base_ ; -- Begin function _ZN9rocsparseL24sddmm_coox_sample_kernelILi512ELb0EdlldEEvT3_S1_T2_PKT4_S1_PS3_PKS2_S8_21rocsparse_index_base_
	.p2align	8
	.type	_ZN9rocsparseL24sddmm_coox_sample_kernelILi512ELb0EdlldEEvT3_S1_T2_PKT4_S1_PS3_PKS2_S8_21rocsparse_index_base_,@function
_ZN9rocsparseL24sddmm_coox_sample_kernelILi512ELb0EdlldEEvT3_S1_T2_PKT4_S1_PS3_PKS2_S8_21rocsparse_index_base_: ; @_ZN9rocsparseL24sddmm_coox_sample_kernelILi512ELb0EdlldEEvT3_S1_T2_PKT4_S1_PS3_PKS2_S8_21rocsparse_index_base_
; %bb.0:
	s_load_dwordx2 s[2:3], s[4:5], 0x10
	v_lshl_or_b32 v0, s6, 9, v0
	v_mov_b32_e32 v1, 0
	s_mov_b32 s0, exec_lo
	s_waitcnt lgkmcnt(0)
	v_cmpx_gt_i64_e64 s[2:3], v[0:1]
	s_cbranch_execz .LBB35_3
; %bb.1:
	s_clause 0x3
	s_load_dword s0, s[4:5], 0x48
	s_load_dwordx2 s[12:13], s[4:5], 0x38
	s_load_dword s1, s[4:5], 0x40
	s_load_dwordx8 s[4:11], s[4:5], 0x18
	v_mov_b32_e32 v3, v1
	v_mov_b32_e32 v2, v0
	s_mov_b32 s15, 0
	s_waitcnt lgkmcnt(0)
	s_lshl_b32 s14, s0, 9
	v_add_nc_u32_e32 v0, s14, v0
.LBB35_2:                               ; =>This Inner Loop Header: Depth=1
	v_lshlrev_b64 v[4:5], 3, v[2:3]
	v_add_co_u32 v2, vcc_lo, s12, v4
	v_add_co_ci_u32_e64 v3, null, s13, v5, vcc_lo
	v_add_co_u32 v6, vcc_lo, s10, v4
	v_add_co_ci_u32_e64 v7, null, s11, v5, vcc_lo
	global_load_dwordx2 v[2:3], v[2:3], off
	v_add_co_u32 v4, s0, s8, v4
	global_load_dwordx2 v[6:7], v[6:7], off
	v_add_co_ci_u32_e64 v5, null, s9, v5, s0
	s_waitcnt vmcnt(1)
	v_sub_co_u32 v2, vcc_lo, v2, s1
	v_subrev_co_ci_u32_e64 v3, null, 0, v3, vcc_lo
	s_waitcnt vmcnt(0)
	v_sub_co_u32 v6, vcc_lo, v6, s1
	v_mul_lo_u32 v9, v2, s7
	v_mul_lo_u32 v8, v3, s6
	v_mad_u64_u32 v[2:3], null, v2, s6, 0
	v_subrev_co_ci_u32_e64 v7, null, 0, v7, vcc_lo
	v_lshlrev_b64 v[6:7], 3, v[6:7]
	v_add3_u32 v3, v3, v9, v8
	v_lshlrev_b64 v[2:3], 3, v[2:3]
	v_add_co_u32 v2, vcc_lo, s4, v2
	v_add_co_ci_u32_e64 v3, null, s5, v3, vcc_lo
	v_add_co_u32 v2, vcc_lo, v2, v6
	v_add_co_ci_u32_e64 v3, null, v3, v7, vcc_lo
	v_cmp_le_u64_e32 vcc_lo, s[2:3], v[0:1]
	global_load_dwordx2 v[6:7], v[2:3], off
	v_mov_b32_e32 v3, v1
	v_mov_b32_e32 v2, v0
	v_add_nc_u32_e32 v0, s14, v0
	s_or_b32 s15, vcc_lo, s15
	s_waitcnt vmcnt(0)
	global_store_dwordx2 v[4:5], v[6:7], off
	s_andn2_b32 exec_lo, exec_lo, s15
	s_cbranch_execnz .LBB35_2
.LBB35_3:
	s_endpgm
	.section	.rodata,"a",@progbits
	.p2align	6, 0x0
	.amdhsa_kernel _ZN9rocsparseL24sddmm_coox_sample_kernelILi512ELb0EdlldEEvT3_S1_T2_PKT4_S1_PS3_PKS2_S8_21rocsparse_index_base_
		.amdhsa_group_segment_fixed_size 0
		.amdhsa_private_segment_fixed_size 0
		.amdhsa_kernarg_size 328
		.amdhsa_user_sgpr_count 6
		.amdhsa_user_sgpr_private_segment_buffer 1
		.amdhsa_user_sgpr_dispatch_ptr 0
		.amdhsa_user_sgpr_queue_ptr 0
		.amdhsa_user_sgpr_kernarg_segment_ptr 1
		.amdhsa_user_sgpr_dispatch_id 0
		.amdhsa_user_sgpr_flat_scratch_init 0
		.amdhsa_user_sgpr_private_segment_size 0
		.amdhsa_wavefront_size32 1
		.amdhsa_uses_dynamic_stack 0
		.amdhsa_system_sgpr_private_segment_wavefront_offset 0
		.amdhsa_system_sgpr_workgroup_id_x 1
		.amdhsa_system_sgpr_workgroup_id_y 0
		.amdhsa_system_sgpr_workgroup_id_z 0
		.amdhsa_system_sgpr_workgroup_info 0
		.amdhsa_system_vgpr_workitem_id 0
		.amdhsa_next_free_vgpr 10
		.amdhsa_next_free_sgpr 16
		.amdhsa_reserve_vcc 1
		.amdhsa_reserve_flat_scratch 0
		.amdhsa_float_round_mode_32 0
		.amdhsa_float_round_mode_16_64 0
		.amdhsa_float_denorm_mode_32 3
		.amdhsa_float_denorm_mode_16_64 3
		.amdhsa_dx10_clamp 1
		.amdhsa_ieee_mode 1
		.amdhsa_fp16_overflow 0
		.amdhsa_workgroup_processor_mode 1
		.amdhsa_memory_ordered 1
		.amdhsa_forward_progress 1
		.amdhsa_shared_vgpr_count 0
		.amdhsa_exception_fp_ieee_invalid_op 0
		.amdhsa_exception_fp_denorm_src 0
		.amdhsa_exception_fp_ieee_div_zero 0
		.amdhsa_exception_fp_ieee_overflow 0
		.amdhsa_exception_fp_ieee_underflow 0
		.amdhsa_exception_fp_ieee_inexact 0
		.amdhsa_exception_int_div_zero 0
	.end_amdhsa_kernel
	.section	.text._ZN9rocsparseL24sddmm_coox_sample_kernelILi512ELb0EdlldEEvT3_S1_T2_PKT4_S1_PS3_PKS2_S8_21rocsparse_index_base_,"axG",@progbits,_ZN9rocsparseL24sddmm_coox_sample_kernelILi512ELb0EdlldEEvT3_S1_T2_PKT4_S1_PS3_PKS2_S8_21rocsparse_index_base_,comdat
.Lfunc_end35:
	.size	_ZN9rocsparseL24sddmm_coox_sample_kernelILi512ELb0EdlldEEvT3_S1_T2_PKT4_S1_PS3_PKS2_S8_21rocsparse_index_base_, .Lfunc_end35-_ZN9rocsparseL24sddmm_coox_sample_kernelILi512ELb0EdlldEEvT3_S1_T2_PKT4_S1_PS3_PKS2_S8_21rocsparse_index_base_
                                        ; -- End function
	.set _ZN9rocsparseL24sddmm_coox_sample_kernelILi512ELb0EdlldEEvT3_S1_T2_PKT4_S1_PS3_PKS2_S8_21rocsparse_index_base_.num_vgpr, 10
	.set _ZN9rocsparseL24sddmm_coox_sample_kernelILi512ELb0EdlldEEvT3_S1_T2_PKT4_S1_PS3_PKS2_S8_21rocsparse_index_base_.num_agpr, 0
	.set _ZN9rocsparseL24sddmm_coox_sample_kernelILi512ELb0EdlldEEvT3_S1_T2_PKT4_S1_PS3_PKS2_S8_21rocsparse_index_base_.numbered_sgpr, 16
	.set _ZN9rocsparseL24sddmm_coox_sample_kernelILi512ELb0EdlldEEvT3_S1_T2_PKT4_S1_PS3_PKS2_S8_21rocsparse_index_base_.num_named_barrier, 0
	.set _ZN9rocsparseL24sddmm_coox_sample_kernelILi512ELb0EdlldEEvT3_S1_T2_PKT4_S1_PS3_PKS2_S8_21rocsparse_index_base_.private_seg_size, 0
	.set _ZN9rocsparseL24sddmm_coox_sample_kernelILi512ELb0EdlldEEvT3_S1_T2_PKT4_S1_PS3_PKS2_S8_21rocsparse_index_base_.uses_vcc, 1
	.set _ZN9rocsparseL24sddmm_coox_sample_kernelILi512ELb0EdlldEEvT3_S1_T2_PKT4_S1_PS3_PKS2_S8_21rocsparse_index_base_.uses_flat_scratch, 0
	.set _ZN9rocsparseL24sddmm_coox_sample_kernelILi512ELb0EdlldEEvT3_S1_T2_PKT4_S1_PS3_PKS2_S8_21rocsparse_index_base_.has_dyn_sized_stack, 0
	.set _ZN9rocsparseL24sddmm_coox_sample_kernelILi512ELb0EdlldEEvT3_S1_T2_PKT4_S1_PS3_PKS2_S8_21rocsparse_index_base_.has_recursion, 0
	.set _ZN9rocsparseL24sddmm_coox_sample_kernelILi512ELb0EdlldEEvT3_S1_T2_PKT4_S1_PS3_PKS2_S8_21rocsparse_index_base_.has_indirect_call, 0
	.section	.AMDGPU.csdata,"",@progbits
; Kernel info:
; codeLenInByte = 344
; TotalNumSgprs: 18
; NumVgprs: 10
; ScratchSize: 0
; MemoryBound: 0
; FloatMode: 240
; IeeeMode: 1
; LDSByteSize: 0 bytes/workgroup (compile time only)
; SGPRBlocks: 0
; VGPRBlocks: 1
; NumSGPRsForWavesPerEU: 18
; NumVGPRsForWavesPerEU: 10
; Occupancy: 16
; WaveLimiterHint : 1
; COMPUTE_PGM_RSRC2:SCRATCH_EN: 0
; COMPUTE_PGM_RSRC2:USER_SGPR: 6
; COMPUTE_PGM_RSRC2:TRAP_HANDLER: 0
; COMPUTE_PGM_RSRC2:TGID_X_EN: 1
; COMPUTE_PGM_RSRC2:TGID_Y_EN: 0
; COMPUTE_PGM_RSRC2:TGID_Z_EN: 0
; COMPUTE_PGM_RSRC2:TIDIG_COMP_CNT: 0
	.section	.text._ZN9rocsparseL17sddmm_coox_kernelILi512ELi8ELb0EdlldddEEv20rocsparse_operation_S1_16rocsparse_order_S2_T4_S3_S3_T3_NS_24const_host_device_scalarIT2_EEPKT5_lPKT6_lS7_PT7_PKS4_SH_21rocsparse_index_base_b,"axG",@progbits,_ZN9rocsparseL17sddmm_coox_kernelILi512ELi8ELb0EdlldddEEv20rocsparse_operation_S1_16rocsparse_order_S2_T4_S3_S3_T3_NS_24const_host_device_scalarIT2_EEPKT5_lPKT6_lS7_PT7_PKS4_SH_21rocsparse_index_base_b,comdat
	.globl	_ZN9rocsparseL17sddmm_coox_kernelILi512ELi8ELb0EdlldddEEv20rocsparse_operation_S1_16rocsparse_order_S2_T4_S3_S3_T3_NS_24const_host_device_scalarIT2_EEPKT5_lPKT6_lS7_PT7_PKS4_SH_21rocsparse_index_base_b ; -- Begin function _ZN9rocsparseL17sddmm_coox_kernelILi512ELi8ELb0EdlldddEEv20rocsparse_operation_S1_16rocsparse_order_S2_T4_S3_S3_T3_NS_24const_host_device_scalarIT2_EEPKT5_lPKT6_lS7_PT7_PKS4_SH_21rocsparse_index_base_b
	.p2align	8
	.type	_ZN9rocsparseL17sddmm_coox_kernelILi512ELi8ELb0EdlldddEEv20rocsparse_operation_S1_16rocsparse_order_S2_T4_S3_S3_T3_NS_24const_host_device_scalarIT2_EEPKT5_lPKT6_lS7_PT7_PKS4_SH_21rocsparse_index_base_b,@function
_ZN9rocsparseL17sddmm_coox_kernelILi512ELi8ELb0EdlldddEEv20rocsparse_operation_S1_16rocsparse_order_S2_T4_S3_S3_T3_NS_24const_host_device_scalarIT2_EEPKT5_lPKT6_lS7_PT7_PKS4_SH_21rocsparse_index_base_b: ; @_ZN9rocsparseL17sddmm_coox_kernelILi512ELi8ELb0EdlldddEEv20rocsparse_operation_S1_16rocsparse_order_S2_T4_S3_S3_T3_NS_24const_host_device_scalarIT2_EEPKT5_lPKT6_lS7_PT7_PKS4_SH_21rocsparse_index_base_b
; %bb.0:
	s_clause 0x2
	s_load_dwordx2 s[16:17], s[4:5], 0x78
	s_load_dwordx2 s[0:1], s[4:5], 0x30
	s_load_dwordx4 s[12:15], s[4:5], 0x50
	s_waitcnt lgkmcnt(0)
	s_bitcmp1_b32 s17, 0
	v_mov_b32_e32 v2, s1
	v_mov_b32_e32 v1, s0
	s_cselect_b32 s2, -1, 0
	s_and_b32 vcc_lo, exec_lo, s2
	s_xor_b32 s2, s2, -1
	s_cbranch_vccnz .LBB36_2
; %bb.1:
	v_mov_b32_e32 v2, s1
	v_mov_b32_e32 v1, s0
	flat_load_dwordx2 v[1:2], v[1:2]
.LBB36_2:
	v_mov_b32_e32 v3, s14
	v_mov_b32_e32 v4, s15
	s_andn2_b32 vcc_lo, exec_lo, s2
	s_cbranch_vccnz .LBB36_4
; %bb.3:
	v_mov_b32_e32 v3, s14
	v_mov_b32_e32 v4, s15
	flat_load_dwordx2 v[3:4], v[3:4]
.LBB36_4:
	s_waitcnt vmcnt(0) lgkmcnt(0)
	v_cmp_neq_f64_e32 vcc_lo, 0, v[1:2]
	v_cmp_neq_f64_e64 s0, 1.0, v[3:4]
	s_or_b32 s0, vcc_lo, s0
	s_and_saveexec_b32 s1, s0
	s_cbranch_execz .LBB36_34
; %bb.5:
	s_load_dwordx4 s[8:11], s[4:5], 0x20
	v_lshrrev_b32_e32 v17, 3, v0
	v_mov_b32_e32 v6, 0
	v_lshl_or_b32 v5, s6, 6, v17
	s_waitcnt lgkmcnt(0)
	v_cmp_gt_i64_e32 vcc_lo, s[10:11], v[5:6]
	s_and_b32 exec_lo, exec_lo, vcc_lo
	s_cbranch_execz .LBB36_34
; %bb.6:
	s_load_dwordx4 s[0:3], s[4:5], 0x68
	v_lshlrev_b64 v[5:6], 3, v[5:6]
	s_waitcnt lgkmcnt(0)
	v_add_co_u32 v7, vcc_lo, s0, v5
	v_add_co_ci_u32_e64 v8, null, s1, v6, vcc_lo
	global_load_dwordx2 v[9:10], v[7:8], off
	v_add_co_u32 v7, vcc_lo, s2, v5
	v_add_co_ci_u32_e64 v8, null, s3, v6, vcc_lo
	global_load_dwordx2 v[7:8], v[7:8], off
	s_clause 0x1
	s_load_dwordx4 s[0:3], s[4:5], 0x0
	s_load_dwordx2 s[6:7], s[4:5], 0x40
	s_waitcnt lgkmcnt(0)
	s_cmp_eq_u32 s2, 1
	s_cselect_b32 s10, -1, 0
	s_cmpk_eq_i32 s0, 0x6f
	s_cselect_b32 s11, -1, 0
	s_cmpk_lg_i32 s0, 0x6f
	s_cselect_b32 s0, -1, 0
	s_cmp_lg_u32 s2, 1
	s_waitcnt vmcnt(1)
	v_sub_co_u32 v11, vcc_lo, v9, s16
	v_subrev_co_ci_u32_e64 v12, null, 0, v10, vcc_lo
	s_cbranch_scc0 .LBB36_10
; %bb.7:
	v_mov_b32_e32 v9, v11
	v_mov_b32_e32 v10, v12
	s_andn2_b32 vcc_lo, exec_lo, s11
	s_cbranch_vccnz .LBB36_9
; %bb.8:
	v_mul_lo_u32 v13, v12, s6
	v_mul_lo_u32 v14, v11, s7
	v_mad_u64_u32 v[9:10], null, v11, s6, 0
	v_add3_u32 v10, v10, v14, v13
.LBB36_9:
	s_cbranch_execz .LBB36_11
	s_branch .LBB36_14
.LBB36_10:
                                        ; implicit-def: $vgpr9_vgpr10
.LBB36_11:
	s_andn2_b32 vcc_lo, exec_lo, s0
	s_cbranch_vccnz .LBB36_13
; %bb.12:
	v_mul_lo_u32 v9, v12, s6
	v_mul_lo_u32 v10, v11, s7
	v_mad_u64_u32 v[11:12], null, v11, s6, 0
	v_add3_u32 v12, v12, v10, v9
.LBB36_13:
	v_mov_b32_e32 v9, v11
	v_mov_b32_e32 v10, v12
.LBB36_14:
	s_cmp_eq_u32 s3, 1
	s_waitcnt vmcnt(0)
	v_sub_co_u32 v7, vcc_lo, v7, s16
	s_cselect_b32 s0, -1, 0
	s_cmpk_eq_i32 s1, 0x6f
	v_subrev_co_ci_u32_e64 v8, null, 0, v8, vcc_lo
	s_cselect_b32 s14, -1, 0
	s_cmpk_lg_i32 s1, 0x6f
	s_cselect_b32 s1, -1, 0
	s_cmp_lg_u32 s3, 1
	s_cbranch_scc0 .LBB36_18
; %bb.15:
	v_mov_b32_e32 v12, v8
	v_mov_b32_e32 v11, v7
	s_andn2_b32 vcc_lo, exec_lo, s1
	s_cbranch_vccnz .LBB36_17
; %bb.16:
	v_mul_lo_u32 v13, v8, s12
	v_mul_lo_u32 v14, v7, s13
	v_mad_u64_u32 v[11:12], null, v7, s12, 0
	v_add3_u32 v12, v12, v14, v13
.LBB36_17:
	s_cbranch_execz .LBB36_19
	s_branch .LBB36_22
.LBB36_18:
                                        ; implicit-def: $vgpr11_vgpr12
.LBB36_19:
	s_andn2_b32 vcc_lo, exec_lo, s14
	s_cbranch_vccnz .LBB36_21
; %bb.20:
	v_mul_lo_u32 v11, v8, s12
	v_mul_lo_u32 v12, v7, s13
	v_mad_u64_u32 v[7:8], null, v7, s12, 0
	v_add3_u32 v8, v8, v12, v11
.LBB36_21:
	v_mov_b32_e32 v12, v8
	v_mov_b32_e32 v11, v7
.LBB36_22:
	s_load_dwordx2 s[2:3], s[4:5], 0x60
	v_mov_b32_e32 v13, 0
	v_and_b32_e32 v7, 7, v0
	v_mov_b32_e32 v8, 0
	v_mov_b32_e32 v14, 0
	s_mov_b32 s1, exec_lo
	v_cmpx_gt_i64_e64 s[8:9], v[7:8]
	s_cbranch_execz .LBB36_26
; %bb.23:
	s_xor_b32 s10, s11, s10
	v_lshlrev_b64 v[9:10], 3, v[9:10]
	s_and_b32 s10, s10, exec_lo
	s_cselect_b32 s7, 0, s7
	s_cselect_b32 s6, 1, s6
	s_xor_b32 s0, s14, s0
	v_mad_u64_u32 v[13:14], null, s6, v7, 0
	s_and_b32 s0, s0, exec_lo
	s_cselect_b32 s12, s12, 1
	s_cselect_b32 s13, s13, 0
	v_mad_u64_u32 v[15:16], null, s12, v7, 0
	s_load_dwordx2 s[10:11], s[4:5], 0x38
	v_mov_b32_e32 v0, v14
	s_load_dwordx2 s[4:5], s[4:5], 0x48
	v_lshlrev_b64 v[11:12], 3, v[11:12]
	v_mov_b32_e32 v14, v16
	v_mad_u64_u32 v[18:19], null, s7, v7, v[0:1]
	s_lshl_b64 s[6:7], s[6:7], 6
	v_mad_u64_u32 v[19:20], null, s13, v7, v[14:15]
	v_mov_b32_e32 v14, v18
	v_mov_b32_e32 v16, v19
	v_lshlrev_b64 v[18:19], 3, v[13:14]
	v_mov_b32_e32 v13, 0
	v_mov_b32_e32 v14, 0
	v_lshlrev_b64 v[15:16], 3, v[15:16]
	v_add_co_u32 v0, vcc_lo, v18, v9
	v_add_co_ci_u32_e64 v10, null, v19, v10, vcc_lo
	v_add_co_u32 v11, vcc_lo, v15, v11
	v_add_co_ci_u32_e64 v12, null, v16, v12, vcc_lo
	s_waitcnt lgkmcnt(0)
	v_add_co_u32 v9, vcc_lo, s10, v0
	v_add_co_ci_u32_e64 v10, null, s11, v10, vcc_lo
	v_add_co_u32 v11, vcc_lo, s4, v11
	v_mov_b32_e32 v16, v8
	v_add_co_ci_u32_e64 v12, null, s5, v12, vcc_lo
	v_mov_b32_e32 v15, v7
	s_mov_b32 s10, 0
	s_lshl_b64 s[4:5], s[12:13], 6
	.p2align	6
.LBB36_24:                              ; =>This Inner Loop Header: Depth=1
	global_load_dwordx2 v[18:19], v[9:10], off
	global_load_dwordx2 v[20:21], v[11:12], off
	v_add_co_u32 v15, vcc_lo, v15, 8
	v_add_co_ci_u32_e64 v16, null, 0, v16, vcc_lo
	v_add_co_u32 v11, vcc_lo, v11, s4
	v_add_co_ci_u32_e64 v12, null, s5, v12, vcc_lo
	v_cmp_le_i64_e32 vcc_lo, s[8:9], v[15:16]
	v_add_co_u32 v9, s0, v9, s6
	v_add_co_ci_u32_e64 v10, null, s7, v10, s0
	s_or_b32 s10, vcc_lo, s10
	s_waitcnt vmcnt(0)
	v_fma_f64 v[13:14], v[18:19], v[20:21], v[13:14]
	s_andn2_b32 exec_lo, exec_lo, s10
	s_cbranch_execnz .LBB36_24
; %bb.25:
	s_or_b32 exec_lo, exec_lo, s10
.LBB36_26:
	s_or_b32 exec_lo, exec_lo, s1
	v_lshlrev_b32_e32 v0, 6, v17
	s_mov_b32 s0, exec_lo
	v_lshl_or_b32 v8, v7, 3, v0
	ds_write_b64 v8, v[13:14]
	s_waitcnt lgkmcnt(0)
	s_barrier
	buffer_gl0_inv
	v_cmpx_gt_u32_e32 4, v7
	s_cbranch_execz .LBB36_28
; %bb.27:
	ds_read2_b64 v[9:12], v8 offset1:4
	s_waitcnt lgkmcnt(0)
	v_add_f64 v[9:10], v[11:12], v[9:10]
	ds_write_b64 v8, v[9:10]
.LBB36_28:
	s_or_b32 exec_lo, exec_lo, s0
	s_mov_b32 s0, exec_lo
	s_waitcnt lgkmcnt(0)
	s_barrier
	buffer_gl0_inv
	v_cmpx_gt_u32_e32 2, v7
	s_cbranch_execz .LBB36_30
; %bb.29:
	ds_read2_b64 v[9:12], v8 offset1:2
	s_waitcnt lgkmcnt(0)
	v_add_f64 v[9:10], v[11:12], v[9:10]
	ds_write_b64 v8, v[9:10]
.LBB36_30:
	s_or_b32 exec_lo, exec_lo, s0
	v_cmp_eq_u32_e32 vcc_lo, 0, v7
	s_waitcnt lgkmcnt(0)
	s_barrier
	buffer_gl0_inv
	s_and_saveexec_b32 s0, vcc_lo
	s_cbranch_execz .LBB36_32
; %bb.31:
	ds_read2_b64 v[9:12], v8 offset1:1
	s_waitcnt lgkmcnt(0)
	v_add_f64 v[9:10], v[11:12], v[9:10]
	ds_write_b64 v8, v[9:10]
.LBB36_32:
	s_or_b32 exec_lo, exec_lo, s0
	s_waitcnt lgkmcnt(0)
	s_barrier
	buffer_gl0_inv
	s_and_b32 exec_lo, exec_lo, vcc_lo
	s_cbranch_execz .LBB36_34
; %bb.33:
	v_add_co_u32 v5, vcc_lo, s2, v5
	v_add_co_ci_u32_e64 v6, null, s3, v6, vcc_lo
	ds_read_b64 v[9:10], v0
	global_load_dwordx2 v[7:8], v[5:6], off
	s_waitcnt lgkmcnt(0)
	v_mul_f64 v[0:1], v[1:2], v[9:10]
	s_waitcnt vmcnt(0)
	v_fma_f64 v[0:1], v[3:4], v[7:8], v[0:1]
	global_store_dwordx2 v[5:6], v[0:1], off
.LBB36_34:
	s_endpgm
	.section	.rodata,"a",@progbits
	.p2align	6, 0x0
	.amdhsa_kernel _ZN9rocsparseL17sddmm_coox_kernelILi512ELi8ELb0EdlldddEEv20rocsparse_operation_S1_16rocsparse_order_S2_T4_S3_S3_T3_NS_24const_host_device_scalarIT2_EEPKT5_lPKT6_lS7_PT7_PKS4_SH_21rocsparse_index_base_b
		.amdhsa_group_segment_fixed_size 4096
		.amdhsa_private_segment_fixed_size 0
		.amdhsa_kernarg_size 128
		.amdhsa_user_sgpr_count 6
		.amdhsa_user_sgpr_private_segment_buffer 1
		.amdhsa_user_sgpr_dispatch_ptr 0
		.amdhsa_user_sgpr_queue_ptr 0
		.amdhsa_user_sgpr_kernarg_segment_ptr 1
		.amdhsa_user_sgpr_dispatch_id 0
		.amdhsa_user_sgpr_flat_scratch_init 0
		.amdhsa_user_sgpr_private_segment_size 0
		.amdhsa_wavefront_size32 1
		.amdhsa_uses_dynamic_stack 0
		.amdhsa_system_sgpr_private_segment_wavefront_offset 0
		.amdhsa_system_sgpr_workgroup_id_x 1
		.amdhsa_system_sgpr_workgroup_id_y 0
		.amdhsa_system_sgpr_workgroup_id_z 0
		.amdhsa_system_sgpr_workgroup_info 0
		.amdhsa_system_vgpr_workitem_id 0
		.amdhsa_next_free_vgpr 22
		.amdhsa_next_free_sgpr 18
		.amdhsa_reserve_vcc 1
		.amdhsa_reserve_flat_scratch 0
		.amdhsa_float_round_mode_32 0
		.amdhsa_float_round_mode_16_64 0
		.amdhsa_float_denorm_mode_32 3
		.amdhsa_float_denorm_mode_16_64 3
		.amdhsa_dx10_clamp 1
		.amdhsa_ieee_mode 1
		.amdhsa_fp16_overflow 0
		.amdhsa_workgroup_processor_mode 1
		.amdhsa_memory_ordered 1
		.amdhsa_forward_progress 1
		.amdhsa_shared_vgpr_count 0
		.amdhsa_exception_fp_ieee_invalid_op 0
		.amdhsa_exception_fp_denorm_src 0
		.amdhsa_exception_fp_ieee_div_zero 0
		.amdhsa_exception_fp_ieee_overflow 0
		.amdhsa_exception_fp_ieee_underflow 0
		.amdhsa_exception_fp_ieee_inexact 0
		.amdhsa_exception_int_div_zero 0
	.end_amdhsa_kernel
	.section	.text._ZN9rocsparseL17sddmm_coox_kernelILi512ELi8ELb0EdlldddEEv20rocsparse_operation_S1_16rocsparse_order_S2_T4_S3_S3_T3_NS_24const_host_device_scalarIT2_EEPKT5_lPKT6_lS7_PT7_PKS4_SH_21rocsparse_index_base_b,"axG",@progbits,_ZN9rocsparseL17sddmm_coox_kernelILi512ELi8ELb0EdlldddEEv20rocsparse_operation_S1_16rocsparse_order_S2_T4_S3_S3_T3_NS_24const_host_device_scalarIT2_EEPKT5_lPKT6_lS7_PT7_PKS4_SH_21rocsparse_index_base_b,comdat
.Lfunc_end36:
	.size	_ZN9rocsparseL17sddmm_coox_kernelILi512ELi8ELb0EdlldddEEv20rocsparse_operation_S1_16rocsparse_order_S2_T4_S3_S3_T3_NS_24const_host_device_scalarIT2_EEPKT5_lPKT6_lS7_PT7_PKS4_SH_21rocsparse_index_base_b, .Lfunc_end36-_ZN9rocsparseL17sddmm_coox_kernelILi512ELi8ELb0EdlldddEEv20rocsparse_operation_S1_16rocsparse_order_S2_T4_S3_S3_T3_NS_24const_host_device_scalarIT2_EEPKT5_lPKT6_lS7_PT7_PKS4_SH_21rocsparse_index_base_b
                                        ; -- End function
	.set _ZN9rocsparseL17sddmm_coox_kernelILi512ELi8ELb0EdlldddEEv20rocsparse_operation_S1_16rocsparse_order_S2_T4_S3_S3_T3_NS_24const_host_device_scalarIT2_EEPKT5_lPKT6_lS7_PT7_PKS4_SH_21rocsparse_index_base_b.num_vgpr, 22
	.set _ZN9rocsparseL17sddmm_coox_kernelILi512ELi8ELb0EdlldddEEv20rocsparse_operation_S1_16rocsparse_order_S2_T4_S3_S3_T3_NS_24const_host_device_scalarIT2_EEPKT5_lPKT6_lS7_PT7_PKS4_SH_21rocsparse_index_base_b.num_agpr, 0
	.set _ZN9rocsparseL17sddmm_coox_kernelILi512ELi8ELb0EdlldddEEv20rocsparse_operation_S1_16rocsparse_order_S2_T4_S3_S3_T3_NS_24const_host_device_scalarIT2_EEPKT5_lPKT6_lS7_PT7_PKS4_SH_21rocsparse_index_base_b.numbered_sgpr, 18
	.set _ZN9rocsparseL17sddmm_coox_kernelILi512ELi8ELb0EdlldddEEv20rocsparse_operation_S1_16rocsparse_order_S2_T4_S3_S3_T3_NS_24const_host_device_scalarIT2_EEPKT5_lPKT6_lS7_PT7_PKS4_SH_21rocsparse_index_base_b.num_named_barrier, 0
	.set _ZN9rocsparseL17sddmm_coox_kernelILi512ELi8ELb0EdlldddEEv20rocsparse_operation_S1_16rocsparse_order_S2_T4_S3_S3_T3_NS_24const_host_device_scalarIT2_EEPKT5_lPKT6_lS7_PT7_PKS4_SH_21rocsparse_index_base_b.private_seg_size, 0
	.set _ZN9rocsparseL17sddmm_coox_kernelILi512ELi8ELb0EdlldddEEv20rocsparse_operation_S1_16rocsparse_order_S2_T4_S3_S3_T3_NS_24const_host_device_scalarIT2_EEPKT5_lPKT6_lS7_PT7_PKS4_SH_21rocsparse_index_base_b.uses_vcc, 1
	.set _ZN9rocsparseL17sddmm_coox_kernelILi512ELi8ELb0EdlldddEEv20rocsparse_operation_S1_16rocsparse_order_S2_T4_S3_S3_T3_NS_24const_host_device_scalarIT2_EEPKT5_lPKT6_lS7_PT7_PKS4_SH_21rocsparse_index_base_b.uses_flat_scratch, 0
	.set _ZN9rocsparseL17sddmm_coox_kernelILi512ELi8ELb0EdlldddEEv20rocsparse_operation_S1_16rocsparse_order_S2_T4_S3_S3_T3_NS_24const_host_device_scalarIT2_EEPKT5_lPKT6_lS7_PT7_PKS4_SH_21rocsparse_index_base_b.has_dyn_sized_stack, 0
	.set _ZN9rocsparseL17sddmm_coox_kernelILi512ELi8ELb0EdlldddEEv20rocsparse_operation_S1_16rocsparse_order_S2_T4_S3_S3_T3_NS_24const_host_device_scalarIT2_EEPKT5_lPKT6_lS7_PT7_PKS4_SH_21rocsparse_index_base_b.has_recursion, 0
	.set _ZN9rocsparseL17sddmm_coox_kernelILi512ELi8ELb0EdlldddEEv20rocsparse_operation_S1_16rocsparse_order_S2_T4_S3_S3_T3_NS_24const_host_device_scalarIT2_EEPKT5_lPKT6_lS7_PT7_PKS4_SH_21rocsparse_index_base_b.has_indirect_call, 0
	.section	.AMDGPU.csdata,"",@progbits
; Kernel info:
; codeLenInByte = 1288
; TotalNumSgprs: 20
; NumVgprs: 22
; ScratchSize: 0
; MemoryBound: 0
; FloatMode: 240
; IeeeMode: 1
; LDSByteSize: 4096 bytes/workgroup (compile time only)
; SGPRBlocks: 0
; VGPRBlocks: 2
; NumSGPRsForWavesPerEU: 20
; NumVGPRsForWavesPerEU: 22
; Occupancy: 16
; WaveLimiterHint : 0
; COMPUTE_PGM_RSRC2:SCRATCH_EN: 0
; COMPUTE_PGM_RSRC2:USER_SGPR: 6
; COMPUTE_PGM_RSRC2:TRAP_HANDLER: 0
; COMPUTE_PGM_RSRC2:TGID_X_EN: 1
; COMPUTE_PGM_RSRC2:TGID_Y_EN: 0
; COMPUTE_PGM_RSRC2:TGID_Z_EN: 0
; COMPUTE_PGM_RSRC2:TIDIG_COMP_CNT: 0
	.section	.text._ZN9rocsparseL17sddmm_coox_kernelILi512ELi4ELb0EdlldddEEv20rocsparse_operation_S1_16rocsparse_order_S2_T4_S3_S3_T3_NS_24const_host_device_scalarIT2_EEPKT5_lPKT6_lS7_PT7_PKS4_SH_21rocsparse_index_base_b,"axG",@progbits,_ZN9rocsparseL17sddmm_coox_kernelILi512ELi4ELb0EdlldddEEv20rocsparse_operation_S1_16rocsparse_order_S2_T4_S3_S3_T3_NS_24const_host_device_scalarIT2_EEPKT5_lPKT6_lS7_PT7_PKS4_SH_21rocsparse_index_base_b,comdat
	.globl	_ZN9rocsparseL17sddmm_coox_kernelILi512ELi4ELb0EdlldddEEv20rocsparse_operation_S1_16rocsparse_order_S2_T4_S3_S3_T3_NS_24const_host_device_scalarIT2_EEPKT5_lPKT6_lS7_PT7_PKS4_SH_21rocsparse_index_base_b ; -- Begin function _ZN9rocsparseL17sddmm_coox_kernelILi512ELi4ELb0EdlldddEEv20rocsparse_operation_S1_16rocsparse_order_S2_T4_S3_S3_T3_NS_24const_host_device_scalarIT2_EEPKT5_lPKT6_lS7_PT7_PKS4_SH_21rocsparse_index_base_b
	.p2align	8
	.type	_ZN9rocsparseL17sddmm_coox_kernelILi512ELi4ELb0EdlldddEEv20rocsparse_operation_S1_16rocsparse_order_S2_T4_S3_S3_T3_NS_24const_host_device_scalarIT2_EEPKT5_lPKT6_lS7_PT7_PKS4_SH_21rocsparse_index_base_b,@function
_ZN9rocsparseL17sddmm_coox_kernelILi512ELi4ELb0EdlldddEEv20rocsparse_operation_S1_16rocsparse_order_S2_T4_S3_S3_T3_NS_24const_host_device_scalarIT2_EEPKT5_lPKT6_lS7_PT7_PKS4_SH_21rocsparse_index_base_b: ; @_ZN9rocsparseL17sddmm_coox_kernelILi512ELi4ELb0EdlldddEEv20rocsparse_operation_S1_16rocsparse_order_S2_T4_S3_S3_T3_NS_24const_host_device_scalarIT2_EEPKT5_lPKT6_lS7_PT7_PKS4_SH_21rocsparse_index_base_b
; %bb.0:
	s_clause 0x2
	s_load_dwordx2 s[16:17], s[4:5], 0x78
	s_load_dwordx2 s[0:1], s[4:5], 0x30
	s_load_dwordx4 s[12:15], s[4:5], 0x50
	s_waitcnt lgkmcnt(0)
	s_bitcmp1_b32 s17, 0
	v_mov_b32_e32 v2, s1
	v_mov_b32_e32 v1, s0
	s_cselect_b32 s2, -1, 0
	s_and_b32 vcc_lo, exec_lo, s2
	s_xor_b32 s2, s2, -1
	s_cbranch_vccnz .LBB37_2
; %bb.1:
	v_mov_b32_e32 v2, s1
	v_mov_b32_e32 v1, s0
	flat_load_dwordx2 v[1:2], v[1:2]
.LBB37_2:
	v_mov_b32_e32 v3, s14
	v_mov_b32_e32 v4, s15
	s_andn2_b32 vcc_lo, exec_lo, s2
	s_cbranch_vccnz .LBB37_4
; %bb.3:
	v_mov_b32_e32 v3, s14
	v_mov_b32_e32 v4, s15
	flat_load_dwordx2 v[3:4], v[3:4]
.LBB37_4:
	s_waitcnt vmcnt(0) lgkmcnt(0)
	v_cmp_neq_f64_e32 vcc_lo, 0, v[1:2]
	v_cmp_neq_f64_e64 s0, 1.0, v[3:4]
	s_or_b32 s0, vcc_lo, s0
	s_and_saveexec_b32 s1, s0
	s_cbranch_execz .LBB37_32
; %bb.5:
	s_load_dwordx4 s[8:11], s[4:5], 0x20
	v_lshrrev_b32_e32 v17, 2, v0
	v_mov_b32_e32 v6, 0
	v_lshl_or_b32 v5, s6, 7, v17
	s_waitcnt lgkmcnt(0)
	v_cmp_gt_i64_e32 vcc_lo, s[10:11], v[5:6]
	s_and_b32 exec_lo, exec_lo, vcc_lo
	s_cbranch_execz .LBB37_32
; %bb.6:
	s_load_dwordx4 s[0:3], s[4:5], 0x68
	v_lshlrev_b64 v[5:6], 3, v[5:6]
	s_waitcnt lgkmcnt(0)
	v_add_co_u32 v7, vcc_lo, s0, v5
	v_add_co_ci_u32_e64 v8, null, s1, v6, vcc_lo
	v_add_co_u32 v9, vcc_lo, s2, v5
	v_add_co_ci_u32_e64 v10, null, s3, v6, vcc_lo
	global_load_dwordx2 v[7:8], v[7:8], off
	global_load_dwordx2 v[9:10], v[9:10], off
	s_clause 0x1
	s_load_dwordx4 s[0:3], s[4:5], 0x0
	s_load_dwordx2 s[6:7], s[4:5], 0x40
	s_waitcnt lgkmcnt(0)
	s_cmp_eq_u32 s2, 1
	s_cselect_b32 s10, -1, 0
	s_cmpk_eq_i32 s0, 0x6f
	s_cselect_b32 s11, -1, 0
	s_cmpk_lg_i32 s0, 0x6f
	s_cselect_b32 s0, -1, 0
	s_cmp_lg_u32 s2, 1
	s_waitcnt vmcnt(1)
	v_sub_co_u32 v11, vcc_lo, v7, s16
	v_subrev_co_ci_u32_e64 v12, null, 0, v8, vcc_lo
	s_cbranch_scc0 .LBB37_10
; %bb.7:
	v_mov_b32_e32 v7, v11
	v_mov_b32_e32 v8, v12
	s_andn2_b32 vcc_lo, exec_lo, s11
	s_cbranch_vccnz .LBB37_9
; %bb.8:
	v_mul_lo_u32 v13, v12, s6
	v_mul_lo_u32 v14, v11, s7
	v_mad_u64_u32 v[7:8], null, v11, s6, 0
	v_add3_u32 v8, v8, v14, v13
.LBB37_9:
	s_cbranch_execz .LBB37_11
	s_branch .LBB37_14
.LBB37_10:
                                        ; implicit-def: $vgpr7_vgpr8
.LBB37_11:
	s_andn2_b32 vcc_lo, exec_lo, s0
	s_cbranch_vccnz .LBB37_13
; %bb.12:
	v_mul_lo_u32 v7, v12, s6
	v_mul_lo_u32 v8, v11, s7
	v_mad_u64_u32 v[11:12], null, v11, s6, 0
	v_add3_u32 v12, v12, v8, v7
.LBB37_13:
	v_mov_b32_e32 v7, v11
	v_mov_b32_e32 v8, v12
.LBB37_14:
	s_cmp_eq_u32 s3, 1
	s_waitcnt vmcnt(0)
	v_sub_co_u32 v9, vcc_lo, v9, s16
	s_cselect_b32 s0, -1, 0
	s_cmpk_eq_i32 s1, 0x6f
	v_subrev_co_ci_u32_e64 v10, null, 0, v10, vcc_lo
	s_cselect_b32 s14, -1, 0
	s_cmpk_lg_i32 s1, 0x6f
	s_cselect_b32 s1, -1, 0
	s_cmp_lg_u32 s3, 1
	s_cbranch_scc0 .LBB37_18
; %bb.15:
	v_mov_b32_e32 v12, v10
	v_mov_b32_e32 v11, v9
	s_andn2_b32 vcc_lo, exec_lo, s1
	s_cbranch_vccnz .LBB37_17
; %bb.16:
	v_mul_lo_u32 v13, v10, s12
	v_mul_lo_u32 v14, v9, s13
	v_mad_u64_u32 v[11:12], null, v9, s12, 0
	v_add3_u32 v12, v12, v14, v13
.LBB37_17:
	s_cbranch_execz .LBB37_19
	s_branch .LBB37_22
.LBB37_18:
                                        ; implicit-def: $vgpr11_vgpr12
.LBB37_19:
	s_andn2_b32 vcc_lo, exec_lo, s14
	s_cbranch_vccnz .LBB37_21
; %bb.20:
	v_mul_lo_u32 v11, v10, s12
	v_mul_lo_u32 v12, v9, s13
	v_mad_u64_u32 v[9:10], null, v9, s12, 0
	v_add3_u32 v10, v10, v12, v11
.LBB37_21:
	v_mov_b32_e32 v12, v10
	v_mov_b32_e32 v11, v9
.LBB37_22:
	s_load_dwordx2 s[2:3], s[4:5], 0x60
	v_mov_b32_e32 v13, 0
	v_and_b32_e32 v9, 3, v0
	v_mov_b32_e32 v10, 0
	v_mov_b32_e32 v14, 0
	s_mov_b32 s1, exec_lo
	v_cmpx_gt_i64_e64 s[8:9], v[9:10]
	s_cbranch_execz .LBB37_26
; %bb.23:
	s_xor_b32 s10, s11, s10
	v_lshlrev_b64 v[7:8], 3, v[7:8]
	s_and_b32 s10, s10, exec_lo
	s_cselect_b32 s7, 0, s7
	s_cselect_b32 s6, 1, s6
	s_xor_b32 s0, s14, s0
	v_mad_u64_u32 v[13:14], null, s6, v9, 0
	s_and_b32 s0, s0, exec_lo
	s_cselect_b32 s12, s12, 1
	s_cselect_b32 s13, s13, 0
	v_mad_u64_u32 v[15:16], null, s12, v9, 0
	s_load_dwordx2 s[10:11], s[4:5], 0x38
	v_mov_b32_e32 v0, v14
	s_load_dwordx2 s[4:5], s[4:5], 0x48
	v_lshlrev_b64 v[11:12], 3, v[11:12]
	v_mov_b32_e32 v14, v16
	v_mad_u64_u32 v[18:19], null, s7, v9, v[0:1]
	s_lshl_b64 s[6:7], s[6:7], 5
	v_mad_u64_u32 v[19:20], null, s13, v9, v[14:15]
	v_mov_b32_e32 v14, v18
	v_mov_b32_e32 v16, v19
	v_lshlrev_b64 v[18:19], 3, v[13:14]
	v_mov_b32_e32 v13, 0
	v_mov_b32_e32 v14, 0
	v_lshlrev_b64 v[15:16], 3, v[15:16]
	v_add_co_u32 v0, vcc_lo, v18, v7
	v_add_co_ci_u32_e64 v8, null, v19, v8, vcc_lo
	v_add_co_u32 v11, vcc_lo, v15, v11
	v_add_co_ci_u32_e64 v12, null, v16, v12, vcc_lo
	s_waitcnt lgkmcnt(0)
	v_add_co_u32 v7, vcc_lo, s10, v0
	v_add_co_ci_u32_e64 v8, null, s11, v8, vcc_lo
	v_add_co_u32 v11, vcc_lo, s4, v11
	v_mov_b32_e32 v16, v10
	v_add_co_ci_u32_e64 v12, null, s5, v12, vcc_lo
	v_mov_b32_e32 v15, v9
	s_mov_b32 s10, 0
	s_lshl_b64 s[4:5], s[12:13], 5
	.p2align	6
.LBB37_24:                              ; =>This Inner Loop Header: Depth=1
	global_load_dwordx2 v[18:19], v[7:8], off
	global_load_dwordx2 v[20:21], v[11:12], off
	v_add_co_u32 v15, vcc_lo, v15, 4
	v_add_co_ci_u32_e64 v16, null, 0, v16, vcc_lo
	v_add_co_u32 v11, vcc_lo, v11, s4
	v_add_co_ci_u32_e64 v12, null, s5, v12, vcc_lo
	v_cmp_le_i64_e32 vcc_lo, s[8:9], v[15:16]
	v_add_co_u32 v7, s0, v7, s6
	v_add_co_ci_u32_e64 v8, null, s7, v8, s0
	s_or_b32 s10, vcc_lo, s10
	s_waitcnt vmcnt(0)
	v_fma_f64 v[13:14], v[18:19], v[20:21], v[13:14]
	s_andn2_b32 exec_lo, exec_lo, s10
	s_cbranch_execnz .LBB37_24
; %bb.25:
	s_or_b32 exec_lo, exec_lo, s10
.LBB37_26:
	s_or_b32 exec_lo, exec_lo, s1
	v_lshlrev_b32_e32 v0, 5, v17
	s_mov_b32 s0, exec_lo
	v_lshl_or_b32 v7, v9, 3, v0
	ds_write_b64 v7, v[13:14]
	s_waitcnt lgkmcnt(0)
	s_barrier
	buffer_gl0_inv
	v_cmpx_gt_u32_e32 2, v9
	s_cbranch_execz .LBB37_28
; %bb.27:
	ds_read2_b64 v[10:13], v7 offset1:2
	s_waitcnt lgkmcnt(0)
	v_add_f64 v[10:11], v[12:13], v[10:11]
	ds_write_b64 v7, v[10:11]
.LBB37_28:
	s_or_b32 exec_lo, exec_lo, s0
	v_cmp_eq_u32_e32 vcc_lo, 0, v9
	s_waitcnt lgkmcnt(0)
	s_barrier
	buffer_gl0_inv
	s_and_saveexec_b32 s0, vcc_lo
	s_cbranch_execz .LBB37_30
; %bb.29:
	ds_read2_b64 v[8:11], v7 offset1:1
	s_waitcnt lgkmcnt(0)
	v_add_f64 v[8:9], v[10:11], v[8:9]
	ds_write_b64 v7, v[8:9]
.LBB37_30:
	s_or_b32 exec_lo, exec_lo, s0
	s_waitcnt lgkmcnt(0)
	s_barrier
	buffer_gl0_inv
	s_and_b32 exec_lo, exec_lo, vcc_lo
	s_cbranch_execz .LBB37_32
; %bb.31:
	v_add_co_u32 v5, vcc_lo, s2, v5
	v_add_co_ci_u32_e64 v6, null, s3, v6, vcc_lo
	ds_read_b64 v[9:10], v0
	global_load_dwordx2 v[7:8], v[5:6], off
	s_waitcnt lgkmcnt(0)
	v_mul_f64 v[0:1], v[1:2], v[9:10]
	s_waitcnt vmcnt(0)
	v_fma_f64 v[0:1], v[3:4], v[7:8], v[0:1]
	global_store_dwordx2 v[5:6], v[0:1], off
.LBB37_32:
	s_endpgm
	.section	.rodata,"a",@progbits
	.p2align	6, 0x0
	.amdhsa_kernel _ZN9rocsparseL17sddmm_coox_kernelILi512ELi4ELb0EdlldddEEv20rocsparse_operation_S1_16rocsparse_order_S2_T4_S3_S3_T3_NS_24const_host_device_scalarIT2_EEPKT5_lPKT6_lS7_PT7_PKS4_SH_21rocsparse_index_base_b
		.amdhsa_group_segment_fixed_size 4096
		.amdhsa_private_segment_fixed_size 0
		.amdhsa_kernarg_size 128
		.amdhsa_user_sgpr_count 6
		.amdhsa_user_sgpr_private_segment_buffer 1
		.amdhsa_user_sgpr_dispatch_ptr 0
		.amdhsa_user_sgpr_queue_ptr 0
		.amdhsa_user_sgpr_kernarg_segment_ptr 1
		.amdhsa_user_sgpr_dispatch_id 0
		.amdhsa_user_sgpr_flat_scratch_init 0
		.amdhsa_user_sgpr_private_segment_size 0
		.amdhsa_wavefront_size32 1
		.amdhsa_uses_dynamic_stack 0
		.amdhsa_system_sgpr_private_segment_wavefront_offset 0
		.amdhsa_system_sgpr_workgroup_id_x 1
		.amdhsa_system_sgpr_workgroup_id_y 0
		.amdhsa_system_sgpr_workgroup_id_z 0
		.amdhsa_system_sgpr_workgroup_info 0
		.amdhsa_system_vgpr_workitem_id 0
		.amdhsa_next_free_vgpr 22
		.amdhsa_next_free_sgpr 18
		.amdhsa_reserve_vcc 1
		.amdhsa_reserve_flat_scratch 0
		.amdhsa_float_round_mode_32 0
		.amdhsa_float_round_mode_16_64 0
		.amdhsa_float_denorm_mode_32 3
		.amdhsa_float_denorm_mode_16_64 3
		.amdhsa_dx10_clamp 1
		.amdhsa_ieee_mode 1
		.amdhsa_fp16_overflow 0
		.amdhsa_workgroup_processor_mode 1
		.amdhsa_memory_ordered 1
		.amdhsa_forward_progress 1
		.amdhsa_shared_vgpr_count 0
		.amdhsa_exception_fp_ieee_invalid_op 0
		.amdhsa_exception_fp_denorm_src 0
		.amdhsa_exception_fp_ieee_div_zero 0
		.amdhsa_exception_fp_ieee_overflow 0
		.amdhsa_exception_fp_ieee_underflow 0
		.amdhsa_exception_fp_ieee_inexact 0
		.amdhsa_exception_int_div_zero 0
	.end_amdhsa_kernel
	.section	.text._ZN9rocsparseL17sddmm_coox_kernelILi512ELi4ELb0EdlldddEEv20rocsparse_operation_S1_16rocsparse_order_S2_T4_S3_S3_T3_NS_24const_host_device_scalarIT2_EEPKT5_lPKT6_lS7_PT7_PKS4_SH_21rocsparse_index_base_b,"axG",@progbits,_ZN9rocsparseL17sddmm_coox_kernelILi512ELi4ELb0EdlldddEEv20rocsparse_operation_S1_16rocsparse_order_S2_T4_S3_S3_T3_NS_24const_host_device_scalarIT2_EEPKT5_lPKT6_lS7_PT7_PKS4_SH_21rocsparse_index_base_b,comdat
.Lfunc_end37:
	.size	_ZN9rocsparseL17sddmm_coox_kernelILi512ELi4ELb0EdlldddEEv20rocsparse_operation_S1_16rocsparse_order_S2_T4_S3_S3_T3_NS_24const_host_device_scalarIT2_EEPKT5_lPKT6_lS7_PT7_PKS4_SH_21rocsparse_index_base_b, .Lfunc_end37-_ZN9rocsparseL17sddmm_coox_kernelILi512ELi4ELb0EdlldddEEv20rocsparse_operation_S1_16rocsparse_order_S2_T4_S3_S3_T3_NS_24const_host_device_scalarIT2_EEPKT5_lPKT6_lS7_PT7_PKS4_SH_21rocsparse_index_base_b
                                        ; -- End function
	.set _ZN9rocsparseL17sddmm_coox_kernelILi512ELi4ELb0EdlldddEEv20rocsparse_operation_S1_16rocsparse_order_S2_T4_S3_S3_T3_NS_24const_host_device_scalarIT2_EEPKT5_lPKT6_lS7_PT7_PKS4_SH_21rocsparse_index_base_b.num_vgpr, 22
	.set _ZN9rocsparseL17sddmm_coox_kernelILi512ELi4ELb0EdlldddEEv20rocsparse_operation_S1_16rocsparse_order_S2_T4_S3_S3_T3_NS_24const_host_device_scalarIT2_EEPKT5_lPKT6_lS7_PT7_PKS4_SH_21rocsparse_index_base_b.num_agpr, 0
	.set _ZN9rocsparseL17sddmm_coox_kernelILi512ELi4ELb0EdlldddEEv20rocsparse_operation_S1_16rocsparse_order_S2_T4_S3_S3_T3_NS_24const_host_device_scalarIT2_EEPKT5_lPKT6_lS7_PT7_PKS4_SH_21rocsparse_index_base_b.numbered_sgpr, 18
	.set _ZN9rocsparseL17sddmm_coox_kernelILi512ELi4ELb0EdlldddEEv20rocsparse_operation_S1_16rocsparse_order_S2_T4_S3_S3_T3_NS_24const_host_device_scalarIT2_EEPKT5_lPKT6_lS7_PT7_PKS4_SH_21rocsparse_index_base_b.num_named_barrier, 0
	.set _ZN9rocsparseL17sddmm_coox_kernelILi512ELi4ELb0EdlldddEEv20rocsparse_operation_S1_16rocsparse_order_S2_T4_S3_S3_T3_NS_24const_host_device_scalarIT2_EEPKT5_lPKT6_lS7_PT7_PKS4_SH_21rocsparse_index_base_b.private_seg_size, 0
	.set _ZN9rocsparseL17sddmm_coox_kernelILi512ELi4ELb0EdlldddEEv20rocsparse_operation_S1_16rocsparse_order_S2_T4_S3_S3_T3_NS_24const_host_device_scalarIT2_EEPKT5_lPKT6_lS7_PT7_PKS4_SH_21rocsparse_index_base_b.uses_vcc, 1
	.set _ZN9rocsparseL17sddmm_coox_kernelILi512ELi4ELb0EdlldddEEv20rocsparse_operation_S1_16rocsparse_order_S2_T4_S3_S3_T3_NS_24const_host_device_scalarIT2_EEPKT5_lPKT6_lS7_PT7_PKS4_SH_21rocsparse_index_base_b.uses_flat_scratch, 0
	.set _ZN9rocsparseL17sddmm_coox_kernelILi512ELi4ELb0EdlldddEEv20rocsparse_operation_S1_16rocsparse_order_S2_T4_S3_S3_T3_NS_24const_host_device_scalarIT2_EEPKT5_lPKT6_lS7_PT7_PKS4_SH_21rocsparse_index_base_b.has_dyn_sized_stack, 0
	.set _ZN9rocsparseL17sddmm_coox_kernelILi512ELi4ELb0EdlldddEEv20rocsparse_operation_S1_16rocsparse_order_S2_T4_S3_S3_T3_NS_24const_host_device_scalarIT2_EEPKT5_lPKT6_lS7_PT7_PKS4_SH_21rocsparse_index_base_b.has_recursion, 0
	.set _ZN9rocsparseL17sddmm_coox_kernelILi512ELi4ELb0EdlldddEEv20rocsparse_operation_S1_16rocsparse_order_S2_T4_S3_S3_T3_NS_24const_host_device_scalarIT2_EEPKT5_lPKT6_lS7_PT7_PKS4_SH_21rocsparse_index_base_b.has_indirect_call, 0
	.section	.AMDGPU.csdata,"",@progbits
; Kernel info:
; codeLenInByte = 1228
; TotalNumSgprs: 20
; NumVgprs: 22
; ScratchSize: 0
; MemoryBound: 0
; FloatMode: 240
; IeeeMode: 1
; LDSByteSize: 4096 bytes/workgroup (compile time only)
; SGPRBlocks: 0
; VGPRBlocks: 2
; NumSGPRsForWavesPerEU: 20
; NumVGPRsForWavesPerEU: 22
; Occupancy: 16
; WaveLimiterHint : 0
; COMPUTE_PGM_RSRC2:SCRATCH_EN: 0
; COMPUTE_PGM_RSRC2:USER_SGPR: 6
; COMPUTE_PGM_RSRC2:TRAP_HANDLER: 0
; COMPUTE_PGM_RSRC2:TGID_X_EN: 1
; COMPUTE_PGM_RSRC2:TGID_Y_EN: 0
; COMPUTE_PGM_RSRC2:TGID_Z_EN: 0
; COMPUTE_PGM_RSRC2:TIDIG_COMP_CNT: 0
	.section	.text._ZN9rocsparseL17sddmm_coox_kernelILi512ELi2ELb0EdlldddEEv20rocsparse_operation_S1_16rocsparse_order_S2_T4_S3_S3_T3_NS_24const_host_device_scalarIT2_EEPKT5_lPKT6_lS7_PT7_PKS4_SH_21rocsparse_index_base_b,"axG",@progbits,_ZN9rocsparseL17sddmm_coox_kernelILi512ELi2ELb0EdlldddEEv20rocsparse_operation_S1_16rocsparse_order_S2_T4_S3_S3_T3_NS_24const_host_device_scalarIT2_EEPKT5_lPKT6_lS7_PT7_PKS4_SH_21rocsparse_index_base_b,comdat
	.globl	_ZN9rocsparseL17sddmm_coox_kernelILi512ELi2ELb0EdlldddEEv20rocsparse_operation_S1_16rocsparse_order_S2_T4_S3_S3_T3_NS_24const_host_device_scalarIT2_EEPKT5_lPKT6_lS7_PT7_PKS4_SH_21rocsparse_index_base_b ; -- Begin function _ZN9rocsparseL17sddmm_coox_kernelILi512ELi2ELb0EdlldddEEv20rocsparse_operation_S1_16rocsparse_order_S2_T4_S3_S3_T3_NS_24const_host_device_scalarIT2_EEPKT5_lPKT6_lS7_PT7_PKS4_SH_21rocsparse_index_base_b
	.p2align	8
	.type	_ZN9rocsparseL17sddmm_coox_kernelILi512ELi2ELb0EdlldddEEv20rocsparse_operation_S1_16rocsparse_order_S2_T4_S3_S3_T3_NS_24const_host_device_scalarIT2_EEPKT5_lPKT6_lS7_PT7_PKS4_SH_21rocsparse_index_base_b,@function
_ZN9rocsparseL17sddmm_coox_kernelILi512ELi2ELb0EdlldddEEv20rocsparse_operation_S1_16rocsparse_order_S2_T4_S3_S3_T3_NS_24const_host_device_scalarIT2_EEPKT5_lPKT6_lS7_PT7_PKS4_SH_21rocsparse_index_base_b: ; @_ZN9rocsparseL17sddmm_coox_kernelILi512ELi2ELb0EdlldddEEv20rocsparse_operation_S1_16rocsparse_order_S2_T4_S3_S3_T3_NS_24const_host_device_scalarIT2_EEPKT5_lPKT6_lS7_PT7_PKS4_SH_21rocsparse_index_base_b
; %bb.0:
	s_clause 0x2
	s_load_dwordx2 s[16:17], s[4:5], 0x78
	s_load_dwordx2 s[0:1], s[4:5], 0x30
	s_load_dwordx4 s[12:15], s[4:5], 0x50
	s_waitcnt lgkmcnt(0)
	s_bitcmp1_b32 s17, 0
	v_mov_b32_e32 v2, s1
	v_mov_b32_e32 v1, s0
	s_cselect_b32 s2, -1, 0
	s_and_b32 vcc_lo, exec_lo, s2
	s_xor_b32 s2, s2, -1
	s_cbranch_vccnz .LBB38_2
; %bb.1:
	v_mov_b32_e32 v2, s1
	v_mov_b32_e32 v1, s0
	flat_load_dwordx2 v[1:2], v[1:2]
.LBB38_2:
	v_mov_b32_e32 v3, s14
	v_mov_b32_e32 v4, s15
	s_andn2_b32 vcc_lo, exec_lo, s2
	s_cbranch_vccnz .LBB38_4
; %bb.3:
	v_mov_b32_e32 v3, s14
	v_mov_b32_e32 v4, s15
	flat_load_dwordx2 v[3:4], v[3:4]
.LBB38_4:
	s_waitcnt vmcnt(0) lgkmcnt(0)
	v_cmp_neq_f64_e32 vcc_lo, 0, v[1:2]
	v_cmp_neq_f64_e64 s0, 1.0, v[3:4]
	s_or_b32 s0, vcc_lo, s0
	s_and_saveexec_b32 s1, s0
	s_cbranch_execz .LBB38_30
; %bb.5:
	s_load_dwordx4 s[8:11], s[4:5], 0x20
	v_lshrrev_b32_e32 v17, 1, v0
	v_mov_b32_e32 v6, 0
	v_lshl_or_b32 v5, s6, 8, v17
	s_waitcnt lgkmcnt(0)
	v_cmp_gt_i64_e32 vcc_lo, s[10:11], v[5:6]
	s_and_b32 exec_lo, exec_lo, vcc_lo
	s_cbranch_execz .LBB38_30
; %bb.6:
	s_load_dwordx4 s[0:3], s[4:5], 0x68
	v_lshlrev_b64 v[5:6], 3, v[5:6]
	s_waitcnt lgkmcnt(0)
	v_add_co_u32 v7, vcc_lo, s0, v5
	v_add_co_ci_u32_e64 v8, null, s1, v6, vcc_lo
	v_add_co_u32 v9, vcc_lo, s2, v5
	v_add_co_ci_u32_e64 v10, null, s3, v6, vcc_lo
	global_load_dwordx2 v[7:8], v[7:8], off
	global_load_dwordx2 v[9:10], v[9:10], off
	s_clause 0x1
	s_load_dwordx4 s[0:3], s[4:5], 0x0
	s_load_dwordx2 s[6:7], s[4:5], 0x40
	s_waitcnt lgkmcnt(0)
	s_cmp_eq_u32 s2, 1
	s_cselect_b32 s10, -1, 0
	s_cmpk_eq_i32 s0, 0x6f
	s_cselect_b32 s11, -1, 0
	s_cmpk_lg_i32 s0, 0x6f
	s_cselect_b32 s0, -1, 0
	s_cmp_lg_u32 s2, 1
	s_waitcnt vmcnt(1)
	v_sub_co_u32 v11, vcc_lo, v7, s16
	v_subrev_co_ci_u32_e64 v12, null, 0, v8, vcc_lo
	s_cbranch_scc0 .LBB38_10
; %bb.7:
	v_mov_b32_e32 v7, v11
	v_mov_b32_e32 v8, v12
	s_andn2_b32 vcc_lo, exec_lo, s11
	s_cbranch_vccnz .LBB38_9
; %bb.8:
	v_mul_lo_u32 v13, v12, s6
	v_mul_lo_u32 v14, v11, s7
	v_mad_u64_u32 v[7:8], null, v11, s6, 0
	v_add3_u32 v8, v8, v14, v13
.LBB38_9:
	s_cbranch_execz .LBB38_11
	s_branch .LBB38_14
.LBB38_10:
                                        ; implicit-def: $vgpr7_vgpr8
.LBB38_11:
	s_andn2_b32 vcc_lo, exec_lo, s0
	s_cbranch_vccnz .LBB38_13
; %bb.12:
	v_mul_lo_u32 v7, v12, s6
	v_mul_lo_u32 v8, v11, s7
	v_mad_u64_u32 v[11:12], null, v11, s6, 0
	v_add3_u32 v12, v12, v8, v7
.LBB38_13:
	v_mov_b32_e32 v7, v11
	v_mov_b32_e32 v8, v12
.LBB38_14:
	s_cmp_eq_u32 s3, 1
	s_waitcnt vmcnt(0)
	v_sub_co_u32 v9, vcc_lo, v9, s16
	s_cselect_b32 s0, -1, 0
	s_cmpk_eq_i32 s1, 0x6f
	v_subrev_co_ci_u32_e64 v10, null, 0, v10, vcc_lo
	s_cselect_b32 s14, -1, 0
	s_cmpk_lg_i32 s1, 0x6f
	s_cselect_b32 s1, -1, 0
	s_cmp_lg_u32 s3, 1
	s_cbranch_scc0 .LBB38_18
; %bb.15:
	v_mov_b32_e32 v12, v10
	v_mov_b32_e32 v11, v9
	s_andn2_b32 vcc_lo, exec_lo, s1
	s_cbranch_vccnz .LBB38_17
; %bb.16:
	v_mul_lo_u32 v13, v10, s12
	v_mul_lo_u32 v14, v9, s13
	v_mad_u64_u32 v[11:12], null, v9, s12, 0
	v_add3_u32 v12, v12, v14, v13
.LBB38_17:
	s_cbranch_execz .LBB38_19
	s_branch .LBB38_22
.LBB38_18:
                                        ; implicit-def: $vgpr11_vgpr12
.LBB38_19:
	s_andn2_b32 vcc_lo, exec_lo, s14
	s_cbranch_vccnz .LBB38_21
; %bb.20:
	v_mul_lo_u32 v11, v10, s12
	v_mul_lo_u32 v12, v9, s13
	v_mad_u64_u32 v[9:10], null, v9, s12, 0
	v_add3_u32 v10, v10, v12, v11
.LBB38_21:
	v_mov_b32_e32 v12, v10
	v_mov_b32_e32 v11, v9
.LBB38_22:
	s_load_dwordx2 s[2:3], s[4:5], 0x60
	v_mov_b32_e32 v13, 0
	v_and_b32_e32 v9, 1, v0
	v_mov_b32_e32 v10, 0
	v_mov_b32_e32 v14, 0
	s_mov_b32 s1, exec_lo
	v_cmpx_gt_i64_e64 s[8:9], v[9:10]
	s_cbranch_execz .LBB38_26
; %bb.23:
	s_xor_b32 s10, s11, s10
	v_lshlrev_b64 v[11:12], 3, v[11:12]
	s_and_b32 s10, s10, exec_lo
	s_cselect_b32 s7, 0, s7
	s_cselect_b32 s6, 1, s6
	s_xor_b32 s0, s14, s0
	s_load_dwordx2 s[10:11], s[4:5], 0x48
	s_and_b32 s0, s0, exec_lo
	s_cselect_b32 s13, s13, 0
	s_cselect_b32 s12, s12, 1
	v_mul_lo_u32 v14, s13, v9
	v_mul_lo_u32 v13, s12, v9
	s_load_dwordx2 s[4:5], s[4:5], 0x38
	v_mul_lo_u32 v16, s7, v9
	v_mul_lo_u32 v15, s6, v9
	v_lshlrev_b64 v[7:8], 3, v[7:8]
	s_lshl_b64 s[6:7], s[6:7], 4
	v_lshlrev_b64 v[13:14], 3, v[13:14]
	v_lshlrev_b64 v[15:16], 3, v[15:16]
	v_add_co_u32 v0, vcc_lo, v13, v11
	v_add_co_ci_u32_e64 v11, null, v14, v12, vcc_lo
	v_add_co_u32 v12, vcc_lo, v15, v7
	v_add_co_ci_u32_e64 v13, null, v16, v8, vcc_lo
	s_waitcnt lgkmcnt(0)
	v_add_co_u32 v7, vcc_lo, s10, v0
	v_add_co_ci_u32_e64 v8, null, s11, v11, vcc_lo
	v_add_co_u32 v11, vcc_lo, s4, v12
	v_add_co_ci_u32_e64 v12, null, s5, v13, vcc_lo
	v_mov_b32_e32 v13, 0
	v_mov_b32_e32 v16, v10
	;; [unrolled: 1-line block ×4, first 2 shown]
	s_mov_b32 s10, 0
	s_lshl_b64 s[4:5], s[12:13], 4
	.p2align	6
.LBB38_24:                              ; =>This Inner Loop Header: Depth=1
	global_load_dwordx2 v[18:19], v[11:12], off
	global_load_dwordx2 v[20:21], v[7:8], off
	v_add_co_u32 v15, vcc_lo, v15, 2
	v_add_co_ci_u32_e64 v16, null, 0, v16, vcc_lo
	v_add_co_u32 v7, vcc_lo, v7, s4
	v_add_co_ci_u32_e64 v8, null, s5, v8, vcc_lo
	v_cmp_le_i64_e32 vcc_lo, s[8:9], v[15:16]
	v_add_co_u32 v11, s0, v11, s6
	v_add_co_ci_u32_e64 v12, null, s7, v12, s0
	s_or_b32 s10, vcc_lo, s10
	s_waitcnt vmcnt(0)
	v_fma_f64 v[13:14], v[18:19], v[20:21], v[13:14]
	s_andn2_b32 exec_lo, exec_lo, s10
	s_cbranch_execnz .LBB38_24
; %bb.25:
	s_or_b32 exec_lo, exec_lo, s10
.LBB38_26:
	s_or_b32 exec_lo, exec_lo, s1
	v_lshlrev_b32_e32 v0, 4, v17
	v_cmp_eq_u32_e32 vcc_lo, 0, v9
	v_lshl_or_b32 v7, v9, 3, v0
	ds_write_b64 v7, v[13:14]
	s_waitcnt lgkmcnt(0)
	s_barrier
	buffer_gl0_inv
	s_and_saveexec_b32 s0, vcc_lo
	s_cbranch_execz .LBB38_28
; %bb.27:
	ds_read_b64 v[8:9], v0 offset:8
	ds_read_b64 v[10:11], v7
	s_waitcnt lgkmcnt(0)
	v_add_f64 v[8:9], v[8:9], v[10:11]
	ds_write_b64 v7, v[8:9]
.LBB38_28:
	s_or_b32 exec_lo, exec_lo, s0
	s_waitcnt lgkmcnt(0)
	s_barrier
	buffer_gl0_inv
	s_and_b32 exec_lo, exec_lo, vcc_lo
	s_cbranch_execz .LBB38_30
; %bb.29:
	v_add_co_u32 v5, vcc_lo, s2, v5
	v_add_co_ci_u32_e64 v6, null, s3, v6, vcc_lo
	ds_read_b64 v[9:10], v0
	global_load_dwordx2 v[7:8], v[5:6], off
	s_waitcnt lgkmcnt(0)
	v_mul_f64 v[0:1], v[1:2], v[9:10]
	s_waitcnt vmcnt(0)
	v_fma_f64 v[0:1], v[3:4], v[7:8], v[0:1]
	global_store_dwordx2 v[5:6], v[0:1], off
.LBB38_30:
	s_endpgm
	.section	.rodata,"a",@progbits
	.p2align	6, 0x0
	.amdhsa_kernel _ZN9rocsparseL17sddmm_coox_kernelILi512ELi2ELb0EdlldddEEv20rocsparse_operation_S1_16rocsparse_order_S2_T4_S3_S3_T3_NS_24const_host_device_scalarIT2_EEPKT5_lPKT6_lS7_PT7_PKS4_SH_21rocsparse_index_base_b
		.amdhsa_group_segment_fixed_size 4096
		.amdhsa_private_segment_fixed_size 0
		.amdhsa_kernarg_size 128
		.amdhsa_user_sgpr_count 6
		.amdhsa_user_sgpr_private_segment_buffer 1
		.amdhsa_user_sgpr_dispatch_ptr 0
		.amdhsa_user_sgpr_queue_ptr 0
		.amdhsa_user_sgpr_kernarg_segment_ptr 1
		.amdhsa_user_sgpr_dispatch_id 0
		.amdhsa_user_sgpr_flat_scratch_init 0
		.amdhsa_user_sgpr_private_segment_size 0
		.amdhsa_wavefront_size32 1
		.amdhsa_uses_dynamic_stack 0
		.amdhsa_system_sgpr_private_segment_wavefront_offset 0
		.amdhsa_system_sgpr_workgroup_id_x 1
		.amdhsa_system_sgpr_workgroup_id_y 0
		.amdhsa_system_sgpr_workgroup_id_z 0
		.amdhsa_system_sgpr_workgroup_info 0
		.amdhsa_system_vgpr_workitem_id 0
		.amdhsa_next_free_vgpr 22
		.amdhsa_next_free_sgpr 18
		.amdhsa_reserve_vcc 1
		.amdhsa_reserve_flat_scratch 0
		.amdhsa_float_round_mode_32 0
		.amdhsa_float_round_mode_16_64 0
		.amdhsa_float_denorm_mode_32 3
		.amdhsa_float_denorm_mode_16_64 3
		.amdhsa_dx10_clamp 1
		.amdhsa_ieee_mode 1
		.amdhsa_fp16_overflow 0
		.amdhsa_workgroup_processor_mode 1
		.amdhsa_memory_ordered 1
		.amdhsa_forward_progress 1
		.amdhsa_shared_vgpr_count 0
		.amdhsa_exception_fp_ieee_invalid_op 0
		.amdhsa_exception_fp_denorm_src 0
		.amdhsa_exception_fp_ieee_div_zero 0
		.amdhsa_exception_fp_ieee_overflow 0
		.amdhsa_exception_fp_ieee_underflow 0
		.amdhsa_exception_fp_ieee_inexact 0
		.amdhsa_exception_int_div_zero 0
	.end_amdhsa_kernel
	.section	.text._ZN9rocsparseL17sddmm_coox_kernelILi512ELi2ELb0EdlldddEEv20rocsparse_operation_S1_16rocsparse_order_S2_T4_S3_S3_T3_NS_24const_host_device_scalarIT2_EEPKT5_lPKT6_lS7_PT7_PKS4_SH_21rocsparse_index_base_b,"axG",@progbits,_ZN9rocsparseL17sddmm_coox_kernelILi512ELi2ELb0EdlldddEEv20rocsparse_operation_S1_16rocsparse_order_S2_T4_S3_S3_T3_NS_24const_host_device_scalarIT2_EEPKT5_lPKT6_lS7_PT7_PKS4_SH_21rocsparse_index_base_b,comdat
.Lfunc_end38:
	.size	_ZN9rocsparseL17sddmm_coox_kernelILi512ELi2ELb0EdlldddEEv20rocsparse_operation_S1_16rocsparse_order_S2_T4_S3_S3_T3_NS_24const_host_device_scalarIT2_EEPKT5_lPKT6_lS7_PT7_PKS4_SH_21rocsparse_index_base_b, .Lfunc_end38-_ZN9rocsparseL17sddmm_coox_kernelILi512ELi2ELb0EdlldddEEv20rocsparse_operation_S1_16rocsparse_order_S2_T4_S3_S3_T3_NS_24const_host_device_scalarIT2_EEPKT5_lPKT6_lS7_PT7_PKS4_SH_21rocsparse_index_base_b
                                        ; -- End function
	.set _ZN9rocsparseL17sddmm_coox_kernelILi512ELi2ELb0EdlldddEEv20rocsparse_operation_S1_16rocsparse_order_S2_T4_S3_S3_T3_NS_24const_host_device_scalarIT2_EEPKT5_lPKT6_lS7_PT7_PKS4_SH_21rocsparse_index_base_b.num_vgpr, 22
	.set _ZN9rocsparseL17sddmm_coox_kernelILi512ELi2ELb0EdlldddEEv20rocsparse_operation_S1_16rocsparse_order_S2_T4_S3_S3_T3_NS_24const_host_device_scalarIT2_EEPKT5_lPKT6_lS7_PT7_PKS4_SH_21rocsparse_index_base_b.num_agpr, 0
	.set _ZN9rocsparseL17sddmm_coox_kernelILi512ELi2ELb0EdlldddEEv20rocsparse_operation_S1_16rocsparse_order_S2_T4_S3_S3_T3_NS_24const_host_device_scalarIT2_EEPKT5_lPKT6_lS7_PT7_PKS4_SH_21rocsparse_index_base_b.numbered_sgpr, 18
	.set _ZN9rocsparseL17sddmm_coox_kernelILi512ELi2ELb0EdlldddEEv20rocsparse_operation_S1_16rocsparse_order_S2_T4_S3_S3_T3_NS_24const_host_device_scalarIT2_EEPKT5_lPKT6_lS7_PT7_PKS4_SH_21rocsparse_index_base_b.num_named_barrier, 0
	.set _ZN9rocsparseL17sddmm_coox_kernelILi512ELi2ELb0EdlldddEEv20rocsparse_operation_S1_16rocsparse_order_S2_T4_S3_S3_T3_NS_24const_host_device_scalarIT2_EEPKT5_lPKT6_lS7_PT7_PKS4_SH_21rocsparse_index_base_b.private_seg_size, 0
	.set _ZN9rocsparseL17sddmm_coox_kernelILi512ELi2ELb0EdlldddEEv20rocsparse_operation_S1_16rocsparse_order_S2_T4_S3_S3_T3_NS_24const_host_device_scalarIT2_EEPKT5_lPKT6_lS7_PT7_PKS4_SH_21rocsparse_index_base_b.uses_vcc, 1
	.set _ZN9rocsparseL17sddmm_coox_kernelILi512ELi2ELb0EdlldddEEv20rocsparse_operation_S1_16rocsparse_order_S2_T4_S3_S3_T3_NS_24const_host_device_scalarIT2_EEPKT5_lPKT6_lS7_PT7_PKS4_SH_21rocsparse_index_base_b.uses_flat_scratch, 0
	.set _ZN9rocsparseL17sddmm_coox_kernelILi512ELi2ELb0EdlldddEEv20rocsparse_operation_S1_16rocsparse_order_S2_T4_S3_S3_T3_NS_24const_host_device_scalarIT2_EEPKT5_lPKT6_lS7_PT7_PKS4_SH_21rocsparse_index_base_b.has_dyn_sized_stack, 0
	.set _ZN9rocsparseL17sddmm_coox_kernelILi512ELi2ELb0EdlldddEEv20rocsparse_operation_S1_16rocsparse_order_S2_T4_S3_S3_T3_NS_24const_host_device_scalarIT2_EEPKT5_lPKT6_lS7_PT7_PKS4_SH_21rocsparse_index_base_b.has_recursion, 0
	.set _ZN9rocsparseL17sddmm_coox_kernelILi512ELi2ELb0EdlldddEEv20rocsparse_operation_S1_16rocsparse_order_S2_T4_S3_S3_T3_NS_24const_host_device_scalarIT2_EEPKT5_lPKT6_lS7_PT7_PKS4_SH_21rocsparse_index_base_b.has_indirect_call, 0
	.section	.AMDGPU.csdata,"",@progbits
; Kernel info:
; codeLenInByte = 1112
; TotalNumSgprs: 20
; NumVgprs: 22
; ScratchSize: 0
; MemoryBound: 0
; FloatMode: 240
; IeeeMode: 1
; LDSByteSize: 4096 bytes/workgroup (compile time only)
; SGPRBlocks: 0
; VGPRBlocks: 2
; NumSGPRsForWavesPerEU: 20
; NumVGPRsForWavesPerEU: 22
; Occupancy: 16
; WaveLimiterHint : 0
; COMPUTE_PGM_RSRC2:SCRATCH_EN: 0
; COMPUTE_PGM_RSRC2:USER_SGPR: 6
; COMPUTE_PGM_RSRC2:TRAP_HANDLER: 0
; COMPUTE_PGM_RSRC2:TGID_X_EN: 1
; COMPUTE_PGM_RSRC2:TGID_Y_EN: 0
; COMPUTE_PGM_RSRC2:TGID_Z_EN: 0
; COMPUTE_PGM_RSRC2:TIDIG_COMP_CNT: 0
	.section	.text._ZN9rocsparseL17sddmm_coox_kernelILi512ELi1ELb0EdlldddEEv20rocsparse_operation_S1_16rocsparse_order_S2_T4_S3_S3_T3_NS_24const_host_device_scalarIT2_EEPKT5_lPKT6_lS7_PT7_PKS4_SH_21rocsparse_index_base_b,"axG",@progbits,_ZN9rocsparseL17sddmm_coox_kernelILi512ELi1ELb0EdlldddEEv20rocsparse_operation_S1_16rocsparse_order_S2_T4_S3_S3_T3_NS_24const_host_device_scalarIT2_EEPKT5_lPKT6_lS7_PT7_PKS4_SH_21rocsparse_index_base_b,comdat
	.globl	_ZN9rocsparseL17sddmm_coox_kernelILi512ELi1ELb0EdlldddEEv20rocsparse_operation_S1_16rocsparse_order_S2_T4_S3_S3_T3_NS_24const_host_device_scalarIT2_EEPKT5_lPKT6_lS7_PT7_PKS4_SH_21rocsparse_index_base_b ; -- Begin function _ZN9rocsparseL17sddmm_coox_kernelILi512ELi1ELb0EdlldddEEv20rocsparse_operation_S1_16rocsparse_order_S2_T4_S3_S3_T3_NS_24const_host_device_scalarIT2_EEPKT5_lPKT6_lS7_PT7_PKS4_SH_21rocsparse_index_base_b
	.p2align	8
	.type	_ZN9rocsparseL17sddmm_coox_kernelILi512ELi1ELb0EdlldddEEv20rocsparse_operation_S1_16rocsparse_order_S2_T4_S3_S3_T3_NS_24const_host_device_scalarIT2_EEPKT5_lPKT6_lS7_PT7_PKS4_SH_21rocsparse_index_base_b,@function
_ZN9rocsparseL17sddmm_coox_kernelILi512ELi1ELb0EdlldddEEv20rocsparse_operation_S1_16rocsparse_order_S2_T4_S3_S3_T3_NS_24const_host_device_scalarIT2_EEPKT5_lPKT6_lS7_PT7_PKS4_SH_21rocsparse_index_base_b: ; @_ZN9rocsparseL17sddmm_coox_kernelILi512ELi1ELb0EdlldddEEv20rocsparse_operation_S1_16rocsparse_order_S2_T4_S3_S3_T3_NS_24const_host_device_scalarIT2_EEPKT5_lPKT6_lS7_PT7_PKS4_SH_21rocsparse_index_base_b
; %bb.0:
	s_clause 0x2
	s_load_dwordx2 s[16:17], s[4:5], 0x78
	s_load_dwordx2 s[0:1], s[4:5], 0x30
	s_load_dwordx4 s[8:11], s[4:5], 0x50
	s_waitcnt lgkmcnt(0)
	s_bitcmp1_b32 s17, 0
	v_mov_b32_e32 v2, s1
	v_mov_b32_e32 v1, s0
	s_cselect_b32 s2, -1, 0
	s_and_b32 vcc_lo, exec_lo, s2
	s_xor_b32 s2, s2, -1
	s_cbranch_vccnz .LBB39_2
; %bb.1:
	v_mov_b32_e32 v2, s1
	v_mov_b32_e32 v1, s0
	flat_load_dwordx2 v[1:2], v[1:2]
.LBB39_2:
	v_mov_b32_e32 v3, s10
	v_mov_b32_e32 v4, s11
	s_andn2_b32 vcc_lo, exec_lo, s2
	s_cbranch_vccnz .LBB39_4
; %bb.3:
	v_mov_b32_e32 v3, s10
	v_mov_b32_e32 v4, s11
	flat_load_dwordx2 v[3:4], v[3:4]
.LBB39_4:
	s_waitcnt vmcnt(0) lgkmcnt(0)
	v_cmp_neq_f64_e32 vcc_lo, 0, v[1:2]
	v_cmp_neq_f64_e64 s0, 1.0, v[3:4]
	s_or_b32 s0, vcc_lo, s0
	s_and_saveexec_b32 s1, s0
	s_cbranch_execz .LBB39_27
; %bb.5:
	s_load_dwordx4 s[0:3], s[4:5], 0x20
	v_lshl_or_b32 v5, s6, 9, v0
	v_mov_b32_e32 v6, 0
	s_waitcnt lgkmcnt(0)
	v_cmp_gt_i64_e32 vcc_lo, s[2:3], v[5:6]
	s_and_b32 exec_lo, exec_lo, vcc_lo
	s_cbranch_execz .LBB39_27
; %bb.6:
	s_load_dwordx4 s[12:15], s[4:5], 0x68
	v_lshlrev_b64 v[5:6], 3, v[5:6]
	s_waitcnt lgkmcnt(0)
	v_add_co_u32 v7, vcc_lo, s12, v5
	v_add_co_ci_u32_e64 v8, null, s13, v6, vcc_lo
	v_add_co_u32 v9, vcc_lo, s14, v5
	v_add_co_ci_u32_e64 v10, null, s15, v6, vcc_lo
	global_load_dwordx2 v[7:8], v[7:8], off
	global_load_dwordx2 v[9:10], v[9:10], off
	s_clause 0x1
	s_load_dwordx4 s[12:15], s[4:5], 0x0
	s_load_dwordx2 s[2:3], s[4:5], 0x40
	s_waitcnt lgkmcnt(0)
	s_cmp_eq_u32 s14, 1
	s_cselect_b32 s10, -1, 0
	s_cmpk_eq_i32 s12, 0x6f
	s_cselect_b32 s11, -1, 0
	s_cmpk_lg_i32 s12, 0x6f
	s_cselect_b32 s6, -1, 0
	s_cmp_lg_u32 s14, 1
	s_waitcnt vmcnt(1)
	v_sub_co_u32 v11, vcc_lo, v7, s16
	v_subrev_co_ci_u32_e64 v12, null, 0, v8, vcc_lo
	s_cbranch_scc0 .LBB39_10
; %bb.7:
	v_mov_b32_e32 v7, v11
	v_mov_b32_e32 v8, v12
	s_andn2_b32 vcc_lo, exec_lo, s11
	s_cbranch_vccnz .LBB39_9
; %bb.8:
	v_mul_lo_u32 v13, v12, s2
	v_mul_lo_u32 v14, v11, s3
	v_mad_u64_u32 v[7:8], null, v11, s2, 0
	v_add3_u32 v8, v8, v14, v13
.LBB39_9:
	s_cbranch_execz .LBB39_11
	s_branch .LBB39_14
.LBB39_10:
                                        ; implicit-def: $vgpr7_vgpr8
.LBB39_11:
	s_andn2_b32 vcc_lo, exec_lo, s6
	s_cbranch_vccnz .LBB39_13
; %bb.12:
	v_mul_lo_u32 v7, v12, s2
	v_mul_lo_u32 v8, v11, s3
	v_mad_u64_u32 v[11:12], null, v11, s2, 0
	v_add3_u32 v12, v12, v8, v7
.LBB39_13:
	v_mov_b32_e32 v7, v11
	v_mov_b32_e32 v8, v12
.LBB39_14:
	s_cmp_eq_u32 s15, 1
	s_waitcnt vmcnt(0)
	v_sub_co_u32 v9, vcc_lo, v9, s16
	s_cselect_b32 s12, -1, 0
	s_cmpk_eq_i32 s13, 0x6f
	v_subrev_co_ci_u32_e64 v10, null, 0, v10, vcc_lo
	s_cselect_b32 s14, -1, 0
	s_cmpk_lg_i32 s13, 0x6f
	s_cselect_b32 s6, -1, 0
	s_cmp_lg_u32 s15, 1
	s_cbranch_scc0 .LBB39_21
; %bb.15:
	v_mov_b32_e32 v12, v10
	v_mov_b32_e32 v11, v9
	s_andn2_b32 vcc_lo, exec_lo, s6
	s_cbranch_vccnz .LBB39_17
; %bb.16:
	v_mul_lo_u32 v13, v10, s8
	v_mul_lo_u32 v14, v9, s9
	v_mad_u64_u32 v[11:12], null, v9, s8, 0
	v_add3_u32 v12, v12, v14, v13
.LBB39_17:
	s_cbranch_execz .LBB39_22
; %bb.18:
	s_load_dwordx2 s[6:7], s[4:5], 0x60
	v_cmp_lt_i64_e64 s13, s[0:1], 1
	s_and_b32 vcc_lo, exec_lo, s13
	s_cbranch_vccnz .LBB39_25
.LBB39_19:
	s_clause 0x1
	s_load_dwordx2 s[16:17], s[4:5], 0x48
	s_load_dwordx2 s[4:5], s[4:5], 0x38
	v_lshlrev_b64 v[9:10], 3, v[11:12]
	v_lshlrev_b64 v[11:12], 3, v[7:8]
	s_xor_b32 s10, s11, s10
	v_mov_b32_e32 v7, 0
	s_and_b32 s10, s10, exec_lo
	s_cselect_b32 s11, 0, s3
	s_cselect_b32 s10, 1, s2
	s_xor_b32 s2, s14, s12
	v_mov_b32_e32 v8, 0
	s_and_b32 s2, s2, exec_lo
	s_cselect_b32 s3, s9, 0
	s_cselect_b32 s2, s8, 1
	s_lshl_b64 s[2:3], s[2:3], 3
	s_waitcnt lgkmcnt(0)
	v_add_co_u32 v9, vcc_lo, s16, v9
	v_add_co_ci_u32_e64 v10, null, s17, v10, vcc_lo
	v_add_co_u32 v11, vcc_lo, s4, v11
	v_add_co_ci_u32_e64 v12, null, s5, v12, vcc_lo
	s_lshl_b64 s[4:5], s[10:11], 3
	.p2align	6
.LBB39_20:                              ; =>This Inner Loop Header: Depth=1
	global_load_dwordx2 v[13:14], v[11:12], off
	global_load_dwordx2 v[15:16], v[9:10], off
	v_add_co_u32 v9, vcc_lo, v9, s2
	v_add_co_ci_u32_e64 v10, null, s3, v10, vcc_lo
	v_add_co_u32 v11, vcc_lo, v11, s4
	s_add_u32 s0, s0, -1
	v_add_co_ci_u32_e64 v12, null, s5, v12, vcc_lo
	s_addc_u32 s1, s1, -1
	s_cmp_eq_u64 s[0:1], 0
	s_waitcnt vmcnt(0)
	v_fma_f64 v[7:8], v[13:14], v[15:16], v[7:8]
	s_cbranch_scc0 .LBB39_20
	s_branch .LBB39_26
.LBB39_21:
                                        ; implicit-def: $vgpr11_vgpr12
.LBB39_22:
	s_andn2_b32 vcc_lo, exec_lo, s14
	s_cbranch_vccnz .LBB39_24
; %bb.23:
	v_mul_lo_u32 v11, v10, s8
	v_mul_lo_u32 v12, v9, s9
	v_mad_u64_u32 v[9:10], null, v9, s8, 0
	v_add3_u32 v10, v10, v12, v11
.LBB39_24:
	v_mov_b32_e32 v12, v10
	v_mov_b32_e32 v11, v9
	s_load_dwordx2 s[6:7], s[4:5], 0x60
	v_cmp_lt_i64_e64 s13, s[0:1], 1
	s_and_b32 vcc_lo, exec_lo, s13
	s_cbranch_vccz .LBB39_19
.LBB39_25:
	v_mov_b32_e32 v7, 0
	v_mov_b32_e32 v8, 0
.LBB39_26:
	s_waitcnt lgkmcnt(0)
	v_add_co_u32 v5, vcc_lo, s6, v5
	v_lshlrev_b32_e32 v0, 3, v0
	v_add_co_ci_u32_e64 v6, null, s7, v6, vcc_lo
	ds_write_b64 v0, v[7:8]
	s_waitcnt lgkmcnt(0)
	s_barrier
	buffer_gl0_inv
	global_load_dwordx2 v[7:8], v[5:6], off
	ds_read_b64 v[9:10], v0
	s_waitcnt lgkmcnt(0)
	v_mul_f64 v[0:1], v[1:2], v[9:10]
	s_waitcnt vmcnt(0)
	v_fma_f64 v[0:1], v[3:4], v[7:8], v[0:1]
	global_store_dwordx2 v[5:6], v[0:1], off
.LBB39_27:
	s_endpgm
	.section	.rodata,"a",@progbits
	.p2align	6, 0x0
	.amdhsa_kernel _ZN9rocsparseL17sddmm_coox_kernelILi512ELi1ELb0EdlldddEEv20rocsparse_operation_S1_16rocsparse_order_S2_T4_S3_S3_T3_NS_24const_host_device_scalarIT2_EEPKT5_lPKT6_lS7_PT7_PKS4_SH_21rocsparse_index_base_b
		.amdhsa_group_segment_fixed_size 4096
		.amdhsa_private_segment_fixed_size 0
		.amdhsa_kernarg_size 128
		.amdhsa_user_sgpr_count 6
		.amdhsa_user_sgpr_private_segment_buffer 1
		.amdhsa_user_sgpr_dispatch_ptr 0
		.amdhsa_user_sgpr_queue_ptr 0
		.amdhsa_user_sgpr_kernarg_segment_ptr 1
		.amdhsa_user_sgpr_dispatch_id 0
		.amdhsa_user_sgpr_flat_scratch_init 0
		.amdhsa_user_sgpr_private_segment_size 0
		.amdhsa_wavefront_size32 1
		.amdhsa_uses_dynamic_stack 0
		.amdhsa_system_sgpr_private_segment_wavefront_offset 0
		.amdhsa_system_sgpr_workgroup_id_x 1
		.amdhsa_system_sgpr_workgroup_id_y 0
		.amdhsa_system_sgpr_workgroup_id_z 0
		.amdhsa_system_sgpr_workgroup_info 0
		.amdhsa_system_vgpr_workitem_id 0
		.amdhsa_next_free_vgpr 17
		.amdhsa_next_free_sgpr 18
		.amdhsa_reserve_vcc 1
		.amdhsa_reserve_flat_scratch 0
		.amdhsa_float_round_mode_32 0
		.amdhsa_float_round_mode_16_64 0
		.amdhsa_float_denorm_mode_32 3
		.amdhsa_float_denorm_mode_16_64 3
		.amdhsa_dx10_clamp 1
		.amdhsa_ieee_mode 1
		.amdhsa_fp16_overflow 0
		.amdhsa_workgroup_processor_mode 1
		.amdhsa_memory_ordered 1
		.amdhsa_forward_progress 1
		.amdhsa_shared_vgpr_count 0
		.amdhsa_exception_fp_ieee_invalid_op 0
		.amdhsa_exception_fp_denorm_src 0
		.amdhsa_exception_fp_ieee_div_zero 0
		.amdhsa_exception_fp_ieee_overflow 0
		.amdhsa_exception_fp_ieee_underflow 0
		.amdhsa_exception_fp_ieee_inexact 0
		.amdhsa_exception_int_div_zero 0
	.end_amdhsa_kernel
	.section	.text._ZN9rocsparseL17sddmm_coox_kernelILi512ELi1ELb0EdlldddEEv20rocsparse_operation_S1_16rocsparse_order_S2_T4_S3_S3_T3_NS_24const_host_device_scalarIT2_EEPKT5_lPKT6_lS7_PT7_PKS4_SH_21rocsparse_index_base_b,"axG",@progbits,_ZN9rocsparseL17sddmm_coox_kernelILi512ELi1ELb0EdlldddEEv20rocsparse_operation_S1_16rocsparse_order_S2_T4_S3_S3_T3_NS_24const_host_device_scalarIT2_EEPKT5_lPKT6_lS7_PT7_PKS4_SH_21rocsparse_index_base_b,comdat
.Lfunc_end39:
	.size	_ZN9rocsparseL17sddmm_coox_kernelILi512ELi1ELb0EdlldddEEv20rocsparse_operation_S1_16rocsparse_order_S2_T4_S3_S3_T3_NS_24const_host_device_scalarIT2_EEPKT5_lPKT6_lS7_PT7_PKS4_SH_21rocsparse_index_base_b, .Lfunc_end39-_ZN9rocsparseL17sddmm_coox_kernelILi512ELi1ELb0EdlldddEEv20rocsparse_operation_S1_16rocsparse_order_S2_T4_S3_S3_T3_NS_24const_host_device_scalarIT2_EEPKT5_lPKT6_lS7_PT7_PKS4_SH_21rocsparse_index_base_b
                                        ; -- End function
	.set _ZN9rocsparseL17sddmm_coox_kernelILi512ELi1ELb0EdlldddEEv20rocsparse_operation_S1_16rocsparse_order_S2_T4_S3_S3_T3_NS_24const_host_device_scalarIT2_EEPKT5_lPKT6_lS7_PT7_PKS4_SH_21rocsparse_index_base_b.num_vgpr, 17
	.set _ZN9rocsparseL17sddmm_coox_kernelILi512ELi1ELb0EdlldddEEv20rocsparse_operation_S1_16rocsparse_order_S2_T4_S3_S3_T3_NS_24const_host_device_scalarIT2_EEPKT5_lPKT6_lS7_PT7_PKS4_SH_21rocsparse_index_base_b.num_agpr, 0
	.set _ZN9rocsparseL17sddmm_coox_kernelILi512ELi1ELb0EdlldddEEv20rocsparse_operation_S1_16rocsparse_order_S2_T4_S3_S3_T3_NS_24const_host_device_scalarIT2_EEPKT5_lPKT6_lS7_PT7_PKS4_SH_21rocsparse_index_base_b.numbered_sgpr, 18
	.set _ZN9rocsparseL17sddmm_coox_kernelILi512ELi1ELb0EdlldddEEv20rocsparse_operation_S1_16rocsparse_order_S2_T4_S3_S3_T3_NS_24const_host_device_scalarIT2_EEPKT5_lPKT6_lS7_PT7_PKS4_SH_21rocsparse_index_base_b.num_named_barrier, 0
	.set _ZN9rocsparseL17sddmm_coox_kernelILi512ELi1ELb0EdlldddEEv20rocsparse_operation_S1_16rocsparse_order_S2_T4_S3_S3_T3_NS_24const_host_device_scalarIT2_EEPKT5_lPKT6_lS7_PT7_PKS4_SH_21rocsparse_index_base_b.private_seg_size, 0
	.set _ZN9rocsparseL17sddmm_coox_kernelILi512ELi1ELb0EdlldddEEv20rocsparse_operation_S1_16rocsparse_order_S2_T4_S3_S3_T3_NS_24const_host_device_scalarIT2_EEPKT5_lPKT6_lS7_PT7_PKS4_SH_21rocsparse_index_base_b.uses_vcc, 1
	.set _ZN9rocsparseL17sddmm_coox_kernelILi512ELi1ELb0EdlldddEEv20rocsparse_operation_S1_16rocsparse_order_S2_T4_S3_S3_T3_NS_24const_host_device_scalarIT2_EEPKT5_lPKT6_lS7_PT7_PKS4_SH_21rocsparse_index_base_b.uses_flat_scratch, 0
	.set _ZN9rocsparseL17sddmm_coox_kernelILi512ELi1ELb0EdlldddEEv20rocsparse_operation_S1_16rocsparse_order_S2_T4_S3_S3_T3_NS_24const_host_device_scalarIT2_EEPKT5_lPKT6_lS7_PT7_PKS4_SH_21rocsparse_index_base_b.has_dyn_sized_stack, 0
	.set _ZN9rocsparseL17sddmm_coox_kernelILi512ELi1ELb0EdlldddEEv20rocsparse_operation_S1_16rocsparse_order_S2_T4_S3_S3_T3_NS_24const_host_device_scalarIT2_EEPKT5_lPKT6_lS7_PT7_PKS4_SH_21rocsparse_index_base_b.has_recursion, 0
	.set _ZN9rocsparseL17sddmm_coox_kernelILi512ELi1ELb0EdlldddEEv20rocsparse_operation_S1_16rocsparse_order_S2_T4_S3_S3_T3_NS_24const_host_device_scalarIT2_EEPKT5_lPKT6_lS7_PT7_PKS4_SH_21rocsparse_index_base_b.has_indirect_call, 0
	.section	.AMDGPU.csdata,"",@progbits
; Kernel info:
; codeLenInByte = 964
; TotalNumSgprs: 20
; NumVgprs: 17
; ScratchSize: 0
; MemoryBound: 0
; FloatMode: 240
; IeeeMode: 1
; LDSByteSize: 4096 bytes/workgroup (compile time only)
; SGPRBlocks: 0
; VGPRBlocks: 2
; NumSGPRsForWavesPerEU: 20
; NumVGPRsForWavesPerEU: 17
; Occupancy: 16
; WaveLimiterHint : 0
; COMPUTE_PGM_RSRC2:SCRATCH_EN: 0
; COMPUTE_PGM_RSRC2:USER_SGPR: 6
; COMPUTE_PGM_RSRC2:TRAP_HANDLER: 0
; COMPUTE_PGM_RSRC2:TGID_X_EN: 1
; COMPUTE_PGM_RSRC2:TGID_Y_EN: 0
; COMPUTE_PGM_RSRC2:TGID_Z_EN: 0
; COMPUTE_PGM_RSRC2:TIDIG_COMP_CNT: 0
	.section	.text._ZN9rocsparseL24sddmm_coox_sample_kernelILi512ELb0E21rocsparse_complex_numIfEllS2_EEvT3_S3_T2_PKT4_S3_PS5_PKS4_SA_21rocsparse_index_base_,"axG",@progbits,_ZN9rocsparseL24sddmm_coox_sample_kernelILi512ELb0E21rocsparse_complex_numIfEllS2_EEvT3_S3_T2_PKT4_S3_PS5_PKS4_SA_21rocsparse_index_base_,comdat
	.globl	_ZN9rocsparseL24sddmm_coox_sample_kernelILi512ELb0E21rocsparse_complex_numIfEllS2_EEvT3_S3_T2_PKT4_S3_PS5_PKS4_SA_21rocsparse_index_base_ ; -- Begin function _ZN9rocsparseL24sddmm_coox_sample_kernelILi512ELb0E21rocsparse_complex_numIfEllS2_EEvT3_S3_T2_PKT4_S3_PS5_PKS4_SA_21rocsparse_index_base_
	.p2align	8
	.type	_ZN9rocsparseL24sddmm_coox_sample_kernelILi512ELb0E21rocsparse_complex_numIfEllS2_EEvT3_S3_T2_PKT4_S3_PS5_PKS4_SA_21rocsparse_index_base_,@function
_ZN9rocsparseL24sddmm_coox_sample_kernelILi512ELb0E21rocsparse_complex_numIfEllS2_EEvT3_S3_T2_PKT4_S3_PS5_PKS4_SA_21rocsparse_index_base_: ; @_ZN9rocsparseL24sddmm_coox_sample_kernelILi512ELb0E21rocsparse_complex_numIfEllS2_EEvT3_S3_T2_PKT4_S3_PS5_PKS4_SA_21rocsparse_index_base_
; %bb.0:
	s_load_dwordx2 s[2:3], s[4:5], 0x10
	v_lshl_or_b32 v0, s6, 9, v0
	v_mov_b32_e32 v1, 0
	s_mov_b32 s0, exec_lo
	s_waitcnt lgkmcnt(0)
	v_cmpx_gt_i64_e64 s[2:3], v[0:1]
	s_cbranch_execz .LBB40_3
; %bb.1:
	s_clause 0x3
	s_load_dword s0, s[4:5], 0x48
	s_load_dwordx2 s[12:13], s[4:5], 0x38
	s_load_dword s1, s[4:5], 0x40
	s_load_dwordx8 s[4:11], s[4:5], 0x18
	v_mov_b32_e32 v3, v1
	v_mov_b32_e32 v2, v0
	s_mov_b32 s15, 0
	s_waitcnt lgkmcnt(0)
	s_lshl_b32 s14, s0, 9
	v_add_nc_u32_e32 v0, s14, v0
.LBB40_2:                               ; =>This Inner Loop Header: Depth=1
	v_lshlrev_b64 v[4:5], 3, v[2:3]
	v_add_co_u32 v2, vcc_lo, s12, v4
	v_add_co_ci_u32_e64 v3, null, s13, v5, vcc_lo
	v_add_co_u32 v6, vcc_lo, s10, v4
	v_add_co_ci_u32_e64 v7, null, s11, v5, vcc_lo
	global_load_dwordx2 v[2:3], v[2:3], off
	v_add_co_u32 v4, s0, s8, v4
	global_load_dwordx2 v[6:7], v[6:7], off
	v_add_co_ci_u32_e64 v5, null, s9, v5, s0
	s_waitcnt vmcnt(1)
	v_sub_co_u32 v2, vcc_lo, v2, s1
	v_subrev_co_ci_u32_e64 v3, null, 0, v3, vcc_lo
	s_waitcnt vmcnt(0)
	v_sub_co_u32 v6, vcc_lo, v6, s1
	v_mul_lo_u32 v9, v2, s7
	v_mul_lo_u32 v8, v3, s6
	v_mad_u64_u32 v[2:3], null, v2, s6, 0
	v_subrev_co_ci_u32_e64 v7, null, 0, v7, vcc_lo
	v_lshlrev_b64 v[6:7], 3, v[6:7]
	v_add3_u32 v3, v3, v9, v8
	v_lshlrev_b64 v[2:3], 3, v[2:3]
	v_add_co_u32 v2, vcc_lo, s4, v2
	v_add_co_ci_u32_e64 v3, null, s5, v3, vcc_lo
	v_add_co_u32 v2, vcc_lo, v2, v6
	v_add_co_ci_u32_e64 v3, null, v3, v7, vcc_lo
	v_cmp_le_u64_e32 vcc_lo, s[2:3], v[0:1]
	global_load_dwordx2 v[6:7], v[2:3], off
	v_mov_b32_e32 v3, v1
	v_mov_b32_e32 v2, v0
	v_add_nc_u32_e32 v0, s14, v0
	s_or_b32 s15, vcc_lo, s15
	s_waitcnt vmcnt(0)
	global_store_dwordx2 v[4:5], v[6:7], off
	s_andn2_b32 exec_lo, exec_lo, s15
	s_cbranch_execnz .LBB40_2
.LBB40_3:
	s_endpgm
	.section	.rodata,"a",@progbits
	.p2align	6, 0x0
	.amdhsa_kernel _ZN9rocsparseL24sddmm_coox_sample_kernelILi512ELb0E21rocsparse_complex_numIfEllS2_EEvT3_S3_T2_PKT4_S3_PS5_PKS4_SA_21rocsparse_index_base_
		.amdhsa_group_segment_fixed_size 0
		.amdhsa_private_segment_fixed_size 0
		.amdhsa_kernarg_size 328
		.amdhsa_user_sgpr_count 6
		.amdhsa_user_sgpr_private_segment_buffer 1
		.amdhsa_user_sgpr_dispatch_ptr 0
		.amdhsa_user_sgpr_queue_ptr 0
		.amdhsa_user_sgpr_kernarg_segment_ptr 1
		.amdhsa_user_sgpr_dispatch_id 0
		.amdhsa_user_sgpr_flat_scratch_init 0
		.amdhsa_user_sgpr_private_segment_size 0
		.amdhsa_wavefront_size32 1
		.amdhsa_uses_dynamic_stack 0
		.amdhsa_system_sgpr_private_segment_wavefront_offset 0
		.amdhsa_system_sgpr_workgroup_id_x 1
		.amdhsa_system_sgpr_workgroup_id_y 0
		.amdhsa_system_sgpr_workgroup_id_z 0
		.amdhsa_system_sgpr_workgroup_info 0
		.amdhsa_system_vgpr_workitem_id 0
		.amdhsa_next_free_vgpr 10
		.amdhsa_next_free_sgpr 16
		.amdhsa_reserve_vcc 1
		.amdhsa_reserve_flat_scratch 0
		.amdhsa_float_round_mode_32 0
		.amdhsa_float_round_mode_16_64 0
		.amdhsa_float_denorm_mode_32 3
		.amdhsa_float_denorm_mode_16_64 3
		.amdhsa_dx10_clamp 1
		.amdhsa_ieee_mode 1
		.amdhsa_fp16_overflow 0
		.amdhsa_workgroup_processor_mode 1
		.amdhsa_memory_ordered 1
		.amdhsa_forward_progress 1
		.amdhsa_shared_vgpr_count 0
		.amdhsa_exception_fp_ieee_invalid_op 0
		.amdhsa_exception_fp_denorm_src 0
		.amdhsa_exception_fp_ieee_div_zero 0
		.amdhsa_exception_fp_ieee_overflow 0
		.amdhsa_exception_fp_ieee_underflow 0
		.amdhsa_exception_fp_ieee_inexact 0
		.amdhsa_exception_int_div_zero 0
	.end_amdhsa_kernel
	.section	.text._ZN9rocsparseL24sddmm_coox_sample_kernelILi512ELb0E21rocsparse_complex_numIfEllS2_EEvT3_S3_T2_PKT4_S3_PS5_PKS4_SA_21rocsparse_index_base_,"axG",@progbits,_ZN9rocsparseL24sddmm_coox_sample_kernelILi512ELb0E21rocsparse_complex_numIfEllS2_EEvT3_S3_T2_PKT4_S3_PS5_PKS4_SA_21rocsparse_index_base_,comdat
.Lfunc_end40:
	.size	_ZN9rocsparseL24sddmm_coox_sample_kernelILi512ELb0E21rocsparse_complex_numIfEllS2_EEvT3_S3_T2_PKT4_S3_PS5_PKS4_SA_21rocsparse_index_base_, .Lfunc_end40-_ZN9rocsparseL24sddmm_coox_sample_kernelILi512ELb0E21rocsparse_complex_numIfEllS2_EEvT3_S3_T2_PKT4_S3_PS5_PKS4_SA_21rocsparse_index_base_
                                        ; -- End function
	.set _ZN9rocsparseL24sddmm_coox_sample_kernelILi512ELb0E21rocsparse_complex_numIfEllS2_EEvT3_S3_T2_PKT4_S3_PS5_PKS4_SA_21rocsparse_index_base_.num_vgpr, 10
	.set _ZN9rocsparseL24sddmm_coox_sample_kernelILi512ELb0E21rocsparse_complex_numIfEllS2_EEvT3_S3_T2_PKT4_S3_PS5_PKS4_SA_21rocsparse_index_base_.num_agpr, 0
	.set _ZN9rocsparseL24sddmm_coox_sample_kernelILi512ELb0E21rocsparse_complex_numIfEllS2_EEvT3_S3_T2_PKT4_S3_PS5_PKS4_SA_21rocsparse_index_base_.numbered_sgpr, 16
	.set _ZN9rocsparseL24sddmm_coox_sample_kernelILi512ELb0E21rocsparse_complex_numIfEllS2_EEvT3_S3_T2_PKT4_S3_PS5_PKS4_SA_21rocsparse_index_base_.num_named_barrier, 0
	.set _ZN9rocsparseL24sddmm_coox_sample_kernelILi512ELb0E21rocsparse_complex_numIfEllS2_EEvT3_S3_T2_PKT4_S3_PS5_PKS4_SA_21rocsparse_index_base_.private_seg_size, 0
	.set _ZN9rocsparseL24sddmm_coox_sample_kernelILi512ELb0E21rocsparse_complex_numIfEllS2_EEvT3_S3_T2_PKT4_S3_PS5_PKS4_SA_21rocsparse_index_base_.uses_vcc, 1
	.set _ZN9rocsparseL24sddmm_coox_sample_kernelILi512ELb0E21rocsparse_complex_numIfEllS2_EEvT3_S3_T2_PKT4_S3_PS5_PKS4_SA_21rocsparse_index_base_.uses_flat_scratch, 0
	.set _ZN9rocsparseL24sddmm_coox_sample_kernelILi512ELb0E21rocsparse_complex_numIfEllS2_EEvT3_S3_T2_PKT4_S3_PS5_PKS4_SA_21rocsparse_index_base_.has_dyn_sized_stack, 0
	.set _ZN9rocsparseL24sddmm_coox_sample_kernelILi512ELb0E21rocsparse_complex_numIfEllS2_EEvT3_S3_T2_PKT4_S3_PS5_PKS4_SA_21rocsparse_index_base_.has_recursion, 0
	.set _ZN9rocsparseL24sddmm_coox_sample_kernelILi512ELb0E21rocsparse_complex_numIfEllS2_EEvT3_S3_T2_PKT4_S3_PS5_PKS4_SA_21rocsparse_index_base_.has_indirect_call, 0
	.section	.AMDGPU.csdata,"",@progbits
; Kernel info:
; codeLenInByte = 344
; TotalNumSgprs: 18
; NumVgprs: 10
; ScratchSize: 0
; MemoryBound: 0
; FloatMode: 240
; IeeeMode: 1
; LDSByteSize: 0 bytes/workgroup (compile time only)
; SGPRBlocks: 0
; VGPRBlocks: 1
; NumSGPRsForWavesPerEU: 18
; NumVGPRsForWavesPerEU: 10
; Occupancy: 16
; WaveLimiterHint : 1
; COMPUTE_PGM_RSRC2:SCRATCH_EN: 0
; COMPUTE_PGM_RSRC2:USER_SGPR: 6
; COMPUTE_PGM_RSRC2:TRAP_HANDLER: 0
; COMPUTE_PGM_RSRC2:TGID_X_EN: 1
; COMPUTE_PGM_RSRC2:TGID_Y_EN: 0
; COMPUTE_PGM_RSRC2:TGID_Z_EN: 0
; COMPUTE_PGM_RSRC2:TIDIG_COMP_CNT: 0
	.section	.text._ZN9rocsparseL17sddmm_coox_kernelILi512ELi8ELb0E21rocsparse_complex_numIfEllS2_S2_S2_EEv20rocsparse_operation_S3_16rocsparse_order_S4_T4_S5_S5_T3_NS_24const_host_device_scalarIT2_EEPKT5_lPKT6_lS9_PT7_PKS6_SJ_21rocsparse_index_base_b,"axG",@progbits,_ZN9rocsparseL17sddmm_coox_kernelILi512ELi8ELb0E21rocsparse_complex_numIfEllS2_S2_S2_EEv20rocsparse_operation_S3_16rocsparse_order_S4_T4_S5_S5_T3_NS_24const_host_device_scalarIT2_EEPKT5_lPKT6_lS9_PT7_PKS6_SJ_21rocsparse_index_base_b,comdat
	.globl	_ZN9rocsparseL17sddmm_coox_kernelILi512ELi8ELb0E21rocsparse_complex_numIfEllS2_S2_S2_EEv20rocsparse_operation_S3_16rocsparse_order_S4_T4_S5_S5_T3_NS_24const_host_device_scalarIT2_EEPKT5_lPKT6_lS9_PT7_PKS6_SJ_21rocsparse_index_base_b ; -- Begin function _ZN9rocsparseL17sddmm_coox_kernelILi512ELi8ELb0E21rocsparse_complex_numIfEllS2_S2_S2_EEv20rocsparse_operation_S3_16rocsparse_order_S4_T4_S5_S5_T3_NS_24const_host_device_scalarIT2_EEPKT5_lPKT6_lS9_PT7_PKS6_SJ_21rocsparse_index_base_b
	.p2align	8
	.type	_ZN9rocsparseL17sddmm_coox_kernelILi512ELi8ELb0E21rocsparse_complex_numIfEllS2_S2_S2_EEv20rocsparse_operation_S3_16rocsparse_order_S4_T4_S5_S5_T3_NS_24const_host_device_scalarIT2_EEPKT5_lPKT6_lS9_PT7_PKS6_SJ_21rocsparse_index_base_b,@function
_ZN9rocsparseL17sddmm_coox_kernelILi512ELi8ELb0E21rocsparse_complex_numIfEllS2_S2_S2_EEv20rocsparse_operation_S3_16rocsparse_order_S4_T4_S5_S5_T3_NS_24const_host_device_scalarIT2_EEPKT5_lPKT6_lS9_PT7_PKS6_SJ_21rocsparse_index_base_b: ; @_ZN9rocsparseL17sddmm_coox_kernelILi512ELi8ELb0E21rocsparse_complex_numIfEllS2_S2_S2_EEv20rocsparse_operation_S3_16rocsparse_order_S4_T4_S5_S5_T3_NS_24const_host_device_scalarIT2_EEPKT5_lPKT6_lS9_PT7_PKS6_SJ_21rocsparse_index_base_b
; %bb.0:
	s_clause 0x2
	s_load_dwordx2 s[16:17], s[4:5], 0x78
	s_load_dwordx2 s[0:1], s[4:5], 0x30
	s_load_dwordx4 s[12:15], s[4:5], 0x50
	s_add_u32 s2, s4, 48
	s_addc_u32 s3, s5, 0
	s_add_u32 s7, s4, 0x58
	s_addc_u32 s8, s5, 0
	s_waitcnt lgkmcnt(0)
	s_bitcmp1_b32 s17, 0
	s_cselect_b32 s0, s2, s0
	s_cselect_b32 s1, s3, s1
	v_mov_b32_e32 v1, s0
	v_mov_b32_e32 v2, s1
	s_cselect_b32 s0, s7, s14
	s_cselect_b32 s1, s8, s15
	v_mov_b32_e32 v3, s0
	v_mov_b32_e32 v4, s1
	flat_load_dwordx2 v[1:2], v[1:2]
	s_mov_b32 s0, -1
	s_mov_b32 s1, exec_lo
	flat_load_dwordx2 v[3:4], v[3:4]
	s_waitcnt vmcnt(1) lgkmcnt(1)
	v_or_b32_e32 v5, v1, v2
	v_and_b32_e32 v5, 0x7fffffff, v5
	v_cmpx_eq_u32_e32 0, v5
	s_cbranch_execz .LBB41_2
; %bb.1:
	s_waitcnt vmcnt(0) lgkmcnt(0)
	v_cmp_neq_f32_e32 vcc_lo, 1.0, v3
	v_cmp_neq_f32_e64 s0, 0, v4
	s_or_b32 s0, vcc_lo, s0
	s_orn2_b32 s0, s0, exec_lo
.LBB41_2:
	s_or_b32 exec_lo, exec_lo, s1
	s_and_saveexec_b32 s1, s0
	s_cbranch_execz .LBB41_32
; %bb.3:
	s_load_dwordx4 s[8:11], s[4:5], 0x20
	v_lshrrev_b32_e32 v16, 3, v0
	v_mov_b32_e32 v6, 0
	v_lshl_or_b32 v5, s6, 6, v16
	s_waitcnt lgkmcnt(0)
	v_cmp_gt_i64_e32 vcc_lo, s[10:11], v[5:6]
	s_and_b32 exec_lo, exec_lo, vcc_lo
	s_cbranch_execz .LBB41_32
; %bb.4:
	s_load_dwordx4 s[0:3], s[4:5], 0x68
	v_lshlrev_b64 v[5:6], 3, v[5:6]
	s_waitcnt lgkmcnt(0)
	v_add_co_u32 v7, vcc_lo, s0, v5
	v_add_co_ci_u32_e64 v8, null, s1, v6, vcc_lo
	global_load_dwordx2 v[9:10], v[7:8], off
	v_add_co_u32 v7, vcc_lo, s2, v5
	v_add_co_ci_u32_e64 v8, null, s3, v6, vcc_lo
	global_load_dwordx2 v[7:8], v[7:8], off
	s_clause 0x1
	s_load_dwordx4 s[0:3], s[4:5], 0x0
	s_load_dwordx2 s[6:7], s[4:5], 0x40
	s_waitcnt lgkmcnt(0)
	s_cmp_eq_u32 s2, 1
	s_cselect_b32 s10, -1, 0
	s_cmpk_eq_i32 s0, 0x6f
	s_cselect_b32 s11, -1, 0
	s_cmpk_lg_i32 s0, 0x6f
	s_cselect_b32 s0, -1, 0
	s_cmp_lg_u32 s2, 1
	s_waitcnt vmcnt(1)
	v_sub_co_u32 v11, vcc_lo, v9, s16
	v_subrev_co_ci_u32_e64 v12, null, 0, v10, vcc_lo
	s_cbranch_scc0 .LBB41_8
; %bb.5:
	v_mov_b32_e32 v9, v11
	v_mov_b32_e32 v10, v12
	s_andn2_b32 vcc_lo, exec_lo, s11
	s_cbranch_vccnz .LBB41_7
; %bb.6:
	v_mul_lo_u32 v13, v12, s6
	v_mul_lo_u32 v14, v11, s7
	v_mad_u64_u32 v[9:10], null, v11, s6, 0
	v_add3_u32 v10, v10, v14, v13
.LBB41_7:
	s_cbranch_execz .LBB41_9
	s_branch .LBB41_12
.LBB41_8:
                                        ; implicit-def: $vgpr9_vgpr10
.LBB41_9:
	s_andn2_b32 vcc_lo, exec_lo, s0
	s_cbranch_vccnz .LBB41_11
; %bb.10:
	v_mul_lo_u32 v9, v12, s6
	v_mul_lo_u32 v10, v11, s7
	v_mad_u64_u32 v[11:12], null, v11, s6, 0
	v_add3_u32 v12, v12, v10, v9
.LBB41_11:
	v_mov_b32_e32 v9, v11
	v_mov_b32_e32 v10, v12
.LBB41_12:
	s_cmp_eq_u32 s3, 1
	s_waitcnt vmcnt(0)
	v_sub_co_u32 v7, vcc_lo, v7, s16
	s_cselect_b32 s0, -1, 0
	s_cmpk_eq_i32 s1, 0x6f
	v_subrev_co_ci_u32_e64 v8, null, 0, v8, vcc_lo
	s_cselect_b32 s14, -1, 0
	s_cmpk_lg_i32 s1, 0x6f
	s_cselect_b32 s1, -1, 0
	s_cmp_lg_u32 s3, 1
	s_cbranch_scc0 .LBB41_16
; %bb.13:
	v_mov_b32_e32 v13, v8
	v_mov_b32_e32 v12, v7
	s_andn2_b32 vcc_lo, exec_lo, s1
	s_cbranch_vccnz .LBB41_15
; %bb.14:
	v_mul_lo_u32 v11, v8, s12
	v_mul_lo_u32 v14, v7, s13
	v_mad_u64_u32 v[12:13], null, v7, s12, 0
	v_add3_u32 v13, v13, v14, v11
.LBB41_15:
	s_cbranch_execz .LBB41_17
	s_branch .LBB41_20
.LBB41_16:
                                        ; implicit-def: $vgpr12_vgpr13
.LBB41_17:
	s_andn2_b32 vcc_lo, exec_lo, s14
	s_cbranch_vccnz .LBB41_19
; %bb.18:
	v_mul_lo_u32 v11, v8, s12
	v_mul_lo_u32 v12, v7, s13
	v_mad_u64_u32 v[7:8], null, v7, s12, 0
	v_add3_u32 v8, v8, v12, v11
.LBB41_19:
	v_mov_b32_e32 v13, v8
	v_mov_b32_e32 v12, v7
.LBB41_20:
	s_load_dwordx2 s[2:3], s[4:5], 0x60
	v_mov_b32_e32 v8, 0
	v_and_b32_e32 v7, 7, v0
	s_mov_b32 s1, exec_lo
	v_mov_b32_e32 v11, v8
	v_cmpx_gt_i64_e64 s[8:9], v[7:8]
	s_cbranch_execz .LBB41_24
; %bb.21:
	s_xor_b32 s10, s11, s10
	s_and_b32 s10, s10, exec_lo
	s_cselect_b32 s7, 0, s7
	s_cselect_b32 s6, 1, s6
	s_xor_b32 s0, s14, s0
	v_mad_u64_u32 v[17:18], null, s6, v7, 0
	s_and_b32 s0, s0, exec_lo
	s_cselect_b32 s12, s12, 1
	s_cselect_b32 s13, s13, 0
	v_mad_u64_u32 v[14:15], null, s12, v7, 0
	s_load_dwordx2 s[10:11], s[4:5], 0x48
	v_mov_b32_e32 v11, v18
	s_load_dwordx2 s[4:5], s[4:5], 0x38
	v_mov_b32_e32 v0, v15
	v_mad_u64_u32 v[18:19], null, s13, v7, v[0:1]
	v_mad_u64_u32 v[19:20], null, s7, v7, v[11:12]
	v_lshlrev_b64 v[12:13], 3, v[12:13]
	v_mov_b32_e32 v11, 0
	s_lshl_b64 s[6:7], s[6:7], 6
	v_mov_b32_e32 v15, v18
	v_mov_b32_e32 v18, v19
	v_lshlrev_b64 v[19:20], 3, v[9:10]
	v_mov_b32_e32 v10, v8
	v_lshlrev_b64 v[14:15], 3, v[14:15]
	;; [unrolled: 2-line block ×3, first 2 shown]
	v_add_co_u32 v0, vcc_lo, v14, v12
	v_add_co_ci_u32_e64 v8, null, v15, v13, vcc_lo
	v_add_co_u32 v12, vcc_lo, v17, v19
	v_add_co_ci_u32_e64 v13, null, v18, v20, vcc_lo
	s_waitcnt lgkmcnt(0)
	v_add_co_u32 v0, vcc_lo, s10, v0
	v_add_co_ci_u32_e64 v8, null, s11, v8, vcc_lo
	v_add_co_u32 v12, vcc_lo, s4, v12
	v_add_co_ci_u32_e64 v13, null, s5, v13, vcc_lo
	;; [unrolled: 2-line block ×3, first 2 shown]
	v_mov_b32_e32 v8, v11
	s_mov_b32 s10, 0
	s_lshl_b64 s[4:5], s[12:13], 6
	.p2align	6
.LBB41_22:                              ; =>This Inner Loop Header: Depth=1
	global_load_dwordx2 v[17:18], v[12:13], off
	global_load_dwordx2 v[19:20], v[14:15], off offset:-4
	v_add_co_u32 v9, vcc_lo, v9, 8
	v_add_co_ci_u32_e64 v10, null, 0, v10, vcc_lo
	v_add_co_u32 v14, vcc_lo, v14, s4
	v_add_co_ci_u32_e64 v15, null, s5, v15, vcc_lo
	v_cmp_le_i64_e64 s0, s[8:9], v[9:10]
	v_add_co_u32 v12, vcc_lo, v12, s6
	v_add_co_ci_u32_e64 v13, null, s7, v13, vcc_lo
	s_or_b32 s10, s0, s10
	s_waitcnt vmcnt(0)
	v_mul_f32_e64 v0, v20, -v18
	v_mul_f32_e32 v20, v20, v17
	v_fmac_f32_e32 v0, v17, v19
	v_fmac_f32_e32 v20, v18, v19
	v_add_f32_e32 v11, v11, v0
	v_add_f32_e32 v8, v8, v20
	s_andn2_b32 exec_lo, exec_lo, s10
	s_cbranch_execnz .LBB41_22
; %bb.23:
	s_or_b32 exec_lo, exec_lo, s10
.LBB41_24:
	s_or_b32 exec_lo, exec_lo, s1
	v_lshlrev_b32_e32 v0, 6, v16
	v_mov_b32_e32 v12, v8
	s_mov_b32 s0, exec_lo
	v_lshl_or_b32 v8, v7, 3, v0
	ds_write_b64 v8, v[11:12]
	s_waitcnt lgkmcnt(0)
	s_barrier
	buffer_gl0_inv
	v_cmpx_gt_u32_e32 4, v7
	s_cbranch_execz .LBB41_26
; %bb.25:
	ds_read2_b64 v[9:12], v8 offset1:4
	s_waitcnt lgkmcnt(0)
	v_add_f32_e32 v9, v11, v9
	v_add_f32_e32 v10, v12, v10
	ds_write_b64 v8, v[9:10]
.LBB41_26:
	s_or_b32 exec_lo, exec_lo, s0
	s_mov_b32 s0, exec_lo
	s_waitcnt lgkmcnt(0)
	s_barrier
	buffer_gl0_inv
	v_cmpx_gt_u32_e32 2, v7
	s_cbranch_execz .LBB41_28
; %bb.27:
	ds_read2_b64 v[9:12], v8 offset1:2
	s_waitcnt lgkmcnt(0)
	v_add_f32_e32 v9, v11, v9
	v_add_f32_e32 v10, v12, v10
	ds_write_b64 v8, v[9:10]
.LBB41_28:
	s_or_b32 exec_lo, exec_lo, s0
	v_cmp_eq_u32_e32 vcc_lo, 0, v7
	s_waitcnt lgkmcnt(0)
	s_barrier
	buffer_gl0_inv
	s_and_saveexec_b32 s0, vcc_lo
	s_cbranch_execz .LBB41_30
; %bb.29:
	ds_read2_b64 v[9:12], v8 offset1:1
	s_waitcnt lgkmcnt(0)
	v_add_f32_e32 v9, v11, v9
	v_add_f32_e32 v10, v12, v10
	ds_write_b64 v8, v[9:10]
.LBB41_30:
	s_or_b32 exec_lo, exec_lo, s0
	s_waitcnt lgkmcnt(0)
	s_barrier
	buffer_gl0_inv
	s_and_b32 exec_lo, exec_lo, vcc_lo
	s_cbranch_execz .LBB41_32
; %bb.31:
	v_add_co_u32 v5, vcc_lo, s2, v5
	v_add_co_ci_u32_e64 v6, null, s3, v6, vcc_lo
	ds_read_b64 v[9:10], v0
	global_load_dwordx2 v[7:8], v[5:6], off
	s_waitcnt lgkmcnt(0)
	v_mul_f32_e64 v0, v10, -v2
	v_mul_f32_e32 v10, v10, v1
	v_fmac_f32_e32 v0, v1, v9
	v_fmac_f32_e32 v10, v2, v9
	s_waitcnt vmcnt(0)
	v_mul_f32_e64 v11, v4, -v8
	v_mul_f32_e32 v4, v4, v7
	v_fmac_f32_e32 v11, v7, v3
	v_fmac_f32_e32 v4, v8, v3
	v_add_f32_e32 v0, v0, v11
	v_add_f32_e32 v1, v10, v4
	global_store_dwordx2 v[5:6], v[0:1], off
.LBB41_32:
	s_endpgm
	.section	.rodata,"a",@progbits
	.p2align	6, 0x0
	.amdhsa_kernel _ZN9rocsparseL17sddmm_coox_kernelILi512ELi8ELb0E21rocsparse_complex_numIfEllS2_S2_S2_EEv20rocsparse_operation_S3_16rocsparse_order_S4_T4_S5_S5_T3_NS_24const_host_device_scalarIT2_EEPKT5_lPKT6_lS9_PT7_PKS6_SJ_21rocsparse_index_base_b
		.amdhsa_group_segment_fixed_size 4096
		.amdhsa_private_segment_fixed_size 0
		.amdhsa_kernarg_size 128
		.amdhsa_user_sgpr_count 6
		.amdhsa_user_sgpr_private_segment_buffer 1
		.amdhsa_user_sgpr_dispatch_ptr 0
		.amdhsa_user_sgpr_queue_ptr 0
		.amdhsa_user_sgpr_kernarg_segment_ptr 1
		.amdhsa_user_sgpr_dispatch_id 0
		.amdhsa_user_sgpr_flat_scratch_init 0
		.amdhsa_user_sgpr_private_segment_size 0
		.amdhsa_wavefront_size32 1
		.amdhsa_uses_dynamic_stack 0
		.amdhsa_system_sgpr_private_segment_wavefront_offset 0
		.amdhsa_system_sgpr_workgroup_id_x 1
		.amdhsa_system_sgpr_workgroup_id_y 0
		.amdhsa_system_sgpr_workgroup_id_z 0
		.amdhsa_system_sgpr_workgroup_info 0
		.amdhsa_system_vgpr_workitem_id 0
		.amdhsa_next_free_vgpr 21
		.amdhsa_next_free_sgpr 18
		.amdhsa_reserve_vcc 1
		.amdhsa_reserve_flat_scratch 0
		.amdhsa_float_round_mode_32 0
		.amdhsa_float_round_mode_16_64 0
		.amdhsa_float_denorm_mode_32 3
		.amdhsa_float_denorm_mode_16_64 3
		.amdhsa_dx10_clamp 1
		.amdhsa_ieee_mode 1
		.amdhsa_fp16_overflow 0
		.amdhsa_workgroup_processor_mode 1
		.amdhsa_memory_ordered 1
		.amdhsa_forward_progress 1
		.amdhsa_shared_vgpr_count 0
		.amdhsa_exception_fp_ieee_invalid_op 0
		.amdhsa_exception_fp_denorm_src 0
		.amdhsa_exception_fp_ieee_div_zero 0
		.amdhsa_exception_fp_ieee_overflow 0
		.amdhsa_exception_fp_ieee_underflow 0
		.amdhsa_exception_fp_ieee_inexact 0
		.amdhsa_exception_int_div_zero 0
	.end_amdhsa_kernel
	.section	.text._ZN9rocsparseL17sddmm_coox_kernelILi512ELi8ELb0E21rocsparse_complex_numIfEllS2_S2_S2_EEv20rocsparse_operation_S3_16rocsparse_order_S4_T4_S5_S5_T3_NS_24const_host_device_scalarIT2_EEPKT5_lPKT6_lS9_PT7_PKS6_SJ_21rocsparse_index_base_b,"axG",@progbits,_ZN9rocsparseL17sddmm_coox_kernelILi512ELi8ELb0E21rocsparse_complex_numIfEllS2_S2_S2_EEv20rocsparse_operation_S3_16rocsparse_order_S4_T4_S5_S5_T3_NS_24const_host_device_scalarIT2_EEPKT5_lPKT6_lS9_PT7_PKS6_SJ_21rocsparse_index_base_b,comdat
.Lfunc_end41:
	.size	_ZN9rocsparseL17sddmm_coox_kernelILi512ELi8ELb0E21rocsparse_complex_numIfEllS2_S2_S2_EEv20rocsparse_operation_S3_16rocsparse_order_S4_T4_S5_S5_T3_NS_24const_host_device_scalarIT2_EEPKT5_lPKT6_lS9_PT7_PKS6_SJ_21rocsparse_index_base_b, .Lfunc_end41-_ZN9rocsparseL17sddmm_coox_kernelILi512ELi8ELb0E21rocsparse_complex_numIfEllS2_S2_S2_EEv20rocsparse_operation_S3_16rocsparse_order_S4_T4_S5_S5_T3_NS_24const_host_device_scalarIT2_EEPKT5_lPKT6_lS9_PT7_PKS6_SJ_21rocsparse_index_base_b
                                        ; -- End function
	.set _ZN9rocsparseL17sddmm_coox_kernelILi512ELi8ELb0E21rocsparse_complex_numIfEllS2_S2_S2_EEv20rocsparse_operation_S3_16rocsparse_order_S4_T4_S5_S5_T3_NS_24const_host_device_scalarIT2_EEPKT5_lPKT6_lS9_PT7_PKS6_SJ_21rocsparse_index_base_b.num_vgpr, 21
	.set _ZN9rocsparseL17sddmm_coox_kernelILi512ELi8ELb0E21rocsparse_complex_numIfEllS2_S2_S2_EEv20rocsparse_operation_S3_16rocsparse_order_S4_T4_S5_S5_T3_NS_24const_host_device_scalarIT2_EEPKT5_lPKT6_lS9_PT7_PKS6_SJ_21rocsparse_index_base_b.num_agpr, 0
	.set _ZN9rocsparseL17sddmm_coox_kernelILi512ELi8ELb0E21rocsparse_complex_numIfEllS2_S2_S2_EEv20rocsparse_operation_S3_16rocsparse_order_S4_T4_S5_S5_T3_NS_24const_host_device_scalarIT2_EEPKT5_lPKT6_lS9_PT7_PKS6_SJ_21rocsparse_index_base_b.numbered_sgpr, 18
	.set _ZN9rocsparseL17sddmm_coox_kernelILi512ELi8ELb0E21rocsparse_complex_numIfEllS2_S2_S2_EEv20rocsparse_operation_S3_16rocsparse_order_S4_T4_S5_S5_T3_NS_24const_host_device_scalarIT2_EEPKT5_lPKT6_lS9_PT7_PKS6_SJ_21rocsparse_index_base_b.num_named_barrier, 0
	.set _ZN9rocsparseL17sddmm_coox_kernelILi512ELi8ELb0E21rocsparse_complex_numIfEllS2_S2_S2_EEv20rocsparse_operation_S3_16rocsparse_order_S4_T4_S5_S5_T3_NS_24const_host_device_scalarIT2_EEPKT5_lPKT6_lS9_PT7_PKS6_SJ_21rocsparse_index_base_b.private_seg_size, 0
	.set _ZN9rocsparseL17sddmm_coox_kernelILi512ELi8ELb0E21rocsparse_complex_numIfEllS2_S2_S2_EEv20rocsparse_operation_S3_16rocsparse_order_S4_T4_S5_S5_T3_NS_24const_host_device_scalarIT2_EEPKT5_lPKT6_lS9_PT7_PKS6_SJ_21rocsparse_index_base_b.uses_vcc, 1
	.set _ZN9rocsparseL17sddmm_coox_kernelILi512ELi8ELb0E21rocsparse_complex_numIfEllS2_S2_S2_EEv20rocsparse_operation_S3_16rocsparse_order_S4_T4_S5_S5_T3_NS_24const_host_device_scalarIT2_EEPKT5_lPKT6_lS9_PT7_PKS6_SJ_21rocsparse_index_base_b.uses_flat_scratch, 0
	.set _ZN9rocsparseL17sddmm_coox_kernelILi512ELi8ELb0E21rocsparse_complex_numIfEllS2_S2_S2_EEv20rocsparse_operation_S3_16rocsparse_order_S4_T4_S5_S5_T3_NS_24const_host_device_scalarIT2_EEPKT5_lPKT6_lS9_PT7_PKS6_SJ_21rocsparse_index_base_b.has_dyn_sized_stack, 0
	.set _ZN9rocsparseL17sddmm_coox_kernelILi512ELi8ELb0E21rocsparse_complex_numIfEllS2_S2_S2_EEv20rocsparse_operation_S3_16rocsparse_order_S4_T4_S5_S5_T3_NS_24const_host_device_scalarIT2_EEPKT5_lPKT6_lS9_PT7_PKS6_SJ_21rocsparse_index_base_b.has_recursion, 0
	.set _ZN9rocsparseL17sddmm_coox_kernelILi512ELi8ELb0E21rocsparse_complex_numIfEllS2_S2_S2_EEv20rocsparse_operation_S3_16rocsparse_order_S4_T4_S5_S5_T3_NS_24const_host_device_scalarIT2_EEPKT5_lPKT6_lS9_PT7_PKS6_SJ_21rocsparse_index_base_b.has_indirect_call, 0
	.section	.AMDGPU.csdata,"",@progbits
; Kernel info:
; codeLenInByte = 1348
; TotalNumSgprs: 20
; NumVgprs: 21
; ScratchSize: 0
; MemoryBound: 0
; FloatMode: 240
; IeeeMode: 1
; LDSByteSize: 4096 bytes/workgroup (compile time only)
; SGPRBlocks: 0
; VGPRBlocks: 2
; NumSGPRsForWavesPerEU: 20
; NumVGPRsForWavesPerEU: 21
; Occupancy: 16
; WaveLimiterHint : 0
; COMPUTE_PGM_RSRC2:SCRATCH_EN: 0
; COMPUTE_PGM_RSRC2:USER_SGPR: 6
; COMPUTE_PGM_RSRC2:TRAP_HANDLER: 0
; COMPUTE_PGM_RSRC2:TGID_X_EN: 1
; COMPUTE_PGM_RSRC2:TGID_Y_EN: 0
; COMPUTE_PGM_RSRC2:TGID_Z_EN: 0
; COMPUTE_PGM_RSRC2:TIDIG_COMP_CNT: 0
	.section	.text._ZN9rocsparseL17sddmm_coox_kernelILi512ELi4ELb0E21rocsparse_complex_numIfEllS2_S2_S2_EEv20rocsparse_operation_S3_16rocsparse_order_S4_T4_S5_S5_T3_NS_24const_host_device_scalarIT2_EEPKT5_lPKT6_lS9_PT7_PKS6_SJ_21rocsparse_index_base_b,"axG",@progbits,_ZN9rocsparseL17sddmm_coox_kernelILi512ELi4ELb0E21rocsparse_complex_numIfEllS2_S2_S2_EEv20rocsparse_operation_S3_16rocsparse_order_S4_T4_S5_S5_T3_NS_24const_host_device_scalarIT2_EEPKT5_lPKT6_lS9_PT7_PKS6_SJ_21rocsparse_index_base_b,comdat
	.globl	_ZN9rocsparseL17sddmm_coox_kernelILi512ELi4ELb0E21rocsparse_complex_numIfEllS2_S2_S2_EEv20rocsparse_operation_S3_16rocsparse_order_S4_T4_S5_S5_T3_NS_24const_host_device_scalarIT2_EEPKT5_lPKT6_lS9_PT7_PKS6_SJ_21rocsparse_index_base_b ; -- Begin function _ZN9rocsparseL17sddmm_coox_kernelILi512ELi4ELb0E21rocsparse_complex_numIfEllS2_S2_S2_EEv20rocsparse_operation_S3_16rocsparse_order_S4_T4_S5_S5_T3_NS_24const_host_device_scalarIT2_EEPKT5_lPKT6_lS9_PT7_PKS6_SJ_21rocsparse_index_base_b
	.p2align	8
	.type	_ZN9rocsparseL17sddmm_coox_kernelILi512ELi4ELb0E21rocsparse_complex_numIfEllS2_S2_S2_EEv20rocsparse_operation_S3_16rocsparse_order_S4_T4_S5_S5_T3_NS_24const_host_device_scalarIT2_EEPKT5_lPKT6_lS9_PT7_PKS6_SJ_21rocsparse_index_base_b,@function
_ZN9rocsparseL17sddmm_coox_kernelILi512ELi4ELb0E21rocsparse_complex_numIfEllS2_S2_S2_EEv20rocsparse_operation_S3_16rocsparse_order_S4_T4_S5_S5_T3_NS_24const_host_device_scalarIT2_EEPKT5_lPKT6_lS9_PT7_PKS6_SJ_21rocsparse_index_base_b: ; @_ZN9rocsparseL17sddmm_coox_kernelILi512ELi4ELb0E21rocsparse_complex_numIfEllS2_S2_S2_EEv20rocsparse_operation_S3_16rocsparse_order_S4_T4_S5_S5_T3_NS_24const_host_device_scalarIT2_EEPKT5_lPKT6_lS9_PT7_PKS6_SJ_21rocsparse_index_base_b
; %bb.0:
	s_clause 0x2
	s_load_dwordx2 s[16:17], s[4:5], 0x78
	s_load_dwordx2 s[0:1], s[4:5], 0x30
	s_load_dwordx4 s[12:15], s[4:5], 0x50
	s_add_u32 s2, s4, 48
	s_addc_u32 s3, s5, 0
	s_add_u32 s7, s4, 0x58
	s_addc_u32 s8, s5, 0
	s_waitcnt lgkmcnt(0)
	s_bitcmp1_b32 s17, 0
	s_cselect_b32 s0, s2, s0
	s_cselect_b32 s1, s3, s1
	v_mov_b32_e32 v1, s0
	v_mov_b32_e32 v2, s1
	s_cselect_b32 s0, s7, s14
	s_cselect_b32 s1, s8, s15
	v_mov_b32_e32 v3, s0
	v_mov_b32_e32 v4, s1
	flat_load_dwordx2 v[1:2], v[1:2]
	s_mov_b32 s0, -1
	s_mov_b32 s1, exec_lo
	flat_load_dwordx2 v[3:4], v[3:4]
	s_waitcnt vmcnt(1) lgkmcnt(1)
	v_or_b32_e32 v5, v1, v2
	v_and_b32_e32 v5, 0x7fffffff, v5
	v_cmpx_eq_u32_e32 0, v5
	s_cbranch_execz .LBB42_2
; %bb.1:
	s_waitcnt vmcnt(0) lgkmcnt(0)
	v_cmp_neq_f32_e32 vcc_lo, 1.0, v3
	v_cmp_neq_f32_e64 s0, 0, v4
	s_or_b32 s0, vcc_lo, s0
	s_orn2_b32 s0, s0, exec_lo
.LBB42_2:
	s_or_b32 exec_lo, exec_lo, s1
	s_and_saveexec_b32 s1, s0
	s_cbranch_execz .LBB42_30
; %bb.3:
	s_load_dwordx4 s[8:11], s[4:5], 0x20
	v_lshrrev_b32_e32 v16, 2, v0
	v_mov_b32_e32 v6, 0
	v_lshl_or_b32 v5, s6, 7, v16
	s_waitcnt lgkmcnt(0)
	v_cmp_gt_i64_e32 vcc_lo, s[10:11], v[5:6]
	s_and_b32 exec_lo, exec_lo, vcc_lo
	s_cbranch_execz .LBB42_30
; %bb.4:
	s_load_dwordx4 s[0:3], s[4:5], 0x68
	v_lshlrev_b64 v[5:6], 3, v[5:6]
	s_waitcnt lgkmcnt(0)
	v_add_co_u32 v7, vcc_lo, s0, v5
	v_add_co_ci_u32_e64 v8, null, s1, v6, vcc_lo
	global_load_dwordx2 v[9:10], v[7:8], off
	v_add_co_u32 v7, vcc_lo, s2, v5
	v_add_co_ci_u32_e64 v8, null, s3, v6, vcc_lo
	global_load_dwordx2 v[7:8], v[7:8], off
	s_clause 0x1
	s_load_dwordx4 s[0:3], s[4:5], 0x0
	s_load_dwordx2 s[6:7], s[4:5], 0x40
	s_waitcnt lgkmcnt(0)
	s_cmp_eq_u32 s2, 1
	s_cselect_b32 s10, -1, 0
	s_cmpk_eq_i32 s0, 0x6f
	s_cselect_b32 s11, -1, 0
	s_cmpk_lg_i32 s0, 0x6f
	s_cselect_b32 s0, -1, 0
	s_cmp_lg_u32 s2, 1
	s_waitcnt vmcnt(1)
	v_sub_co_u32 v11, vcc_lo, v9, s16
	v_subrev_co_ci_u32_e64 v12, null, 0, v10, vcc_lo
	s_cbranch_scc0 .LBB42_8
; %bb.5:
	v_mov_b32_e32 v9, v11
	v_mov_b32_e32 v10, v12
	s_andn2_b32 vcc_lo, exec_lo, s11
	s_cbranch_vccnz .LBB42_7
; %bb.6:
	v_mul_lo_u32 v13, v12, s6
	v_mul_lo_u32 v14, v11, s7
	v_mad_u64_u32 v[9:10], null, v11, s6, 0
	v_add3_u32 v10, v10, v14, v13
.LBB42_7:
	s_cbranch_execz .LBB42_9
	s_branch .LBB42_12
.LBB42_8:
                                        ; implicit-def: $vgpr9_vgpr10
.LBB42_9:
	s_andn2_b32 vcc_lo, exec_lo, s0
	s_cbranch_vccnz .LBB42_11
; %bb.10:
	v_mul_lo_u32 v9, v12, s6
	v_mul_lo_u32 v10, v11, s7
	v_mad_u64_u32 v[11:12], null, v11, s6, 0
	v_add3_u32 v12, v12, v10, v9
.LBB42_11:
	v_mov_b32_e32 v9, v11
	v_mov_b32_e32 v10, v12
.LBB42_12:
	s_cmp_eq_u32 s3, 1
	s_waitcnt vmcnt(0)
	v_sub_co_u32 v7, vcc_lo, v7, s16
	s_cselect_b32 s0, -1, 0
	s_cmpk_eq_i32 s1, 0x6f
	v_subrev_co_ci_u32_e64 v8, null, 0, v8, vcc_lo
	s_cselect_b32 s14, -1, 0
	s_cmpk_lg_i32 s1, 0x6f
	s_cselect_b32 s1, -1, 0
	s_cmp_lg_u32 s3, 1
	s_cbranch_scc0 .LBB42_16
; %bb.13:
	v_mov_b32_e32 v13, v8
	v_mov_b32_e32 v12, v7
	s_andn2_b32 vcc_lo, exec_lo, s1
	s_cbranch_vccnz .LBB42_15
; %bb.14:
	v_mul_lo_u32 v11, v8, s12
	v_mul_lo_u32 v14, v7, s13
	v_mad_u64_u32 v[12:13], null, v7, s12, 0
	v_add3_u32 v13, v13, v14, v11
.LBB42_15:
	s_cbranch_execz .LBB42_17
	s_branch .LBB42_20
.LBB42_16:
                                        ; implicit-def: $vgpr12_vgpr13
.LBB42_17:
	s_andn2_b32 vcc_lo, exec_lo, s14
	s_cbranch_vccnz .LBB42_19
; %bb.18:
	v_mul_lo_u32 v11, v8, s12
	v_mul_lo_u32 v12, v7, s13
	v_mad_u64_u32 v[7:8], null, v7, s12, 0
	v_add3_u32 v8, v8, v12, v11
.LBB42_19:
	v_mov_b32_e32 v13, v8
	v_mov_b32_e32 v12, v7
.LBB42_20:
	s_load_dwordx2 s[2:3], s[4:5], 0x60
	v_mov_b32_e32 v8, 0
	v_and_b32_e32 v7, 3, v0
	s_mov_b32 s1, exec_lo
	v_mov_b32_e32 v11, v8
	v_cmpx_gt_i64_e64 s[8:9], v[7:8]
	s_cbranch_execz .LBB42_24
; %bb.21:
	s_xor_b32 s10, s11, s10
	s_and_b32 s10, s10, exec_lo
	s_cselect_b32 s7, 0, s7
	s_cselect_b32 s6, 1, s6
	s_xor_b32 s0, s14, s0
	v_mad_u64_u32 v[17:18], null, s6, v7, 0
	s_and_b32 s0, s0, exec_lo
	s_cselect_b32 s12, s12, 1
	s_cselect_b32 s13, s13, 0
	v_mad_u64_u32 v[14:15], null, s12, v7, 0
	s_load_dwordx2 s[10:11], s[4:5], 0x48
	v_mov_b32_e32 v11, v18
	s_load_dwordx2 s[4:5], s[4:5], 0x38
	v_mov_b32_e32 v0, v15
	v_mad_u64_u32 v[18:19], null, s13, v7, v[0:1]
	v_mad_u64_u32 v[19:20], null, s7, v7, v[11:12]
	v_lshlrev_b64 v[12:13], 3, v[12:13]
	v_mov_b32_e32 v11, 0
	s_lshl_b64 s[6:7], s[6:7], 5
	v_mov_b32_e32 v15, v18
	v_mov_b32_e32 v18, v19
	v_lshlrev_b64 v[19:20], 3, v[9:10]
	v_mov_b32_e32 v10, v8
	v_lshlrev_b64 v[14:15], 3, v[14:15]
	;; [unrolled: 2-line block ×3, first 2 shown]
	v_add_co_u32 v0, vcc_lo, v14, v12
	v_add_co_ci_u32_e64 v8, null, v15, v13, vcc_lo
	v_add_co_u32 v12, vcc_lo, v17, v19
	v_add_co_ci_u32_e64 v13, null, v18, v20, vcc_lo
	s_waitcnt lgkmcnt(0)
	v_add_co_u32 v0, vcc_lo, s10, v0
	v_add_co_ci_u32_e64 v8, null, s11, v8, vcc_lo
	v_add_co_u32 v12, vcc_lo, s4, v12
	v_add_co_ci_u32_e64 v13, null, s5, v13, vcc_lo
	;; [unrolled: 2-line block ×3, first 2 shown]
	v_mov_b32_e32 v8, v11
	s_mov_b32 s10, 0
	s_lshl_b64 s[4:5], s[12:13], 5
	.p2align	6
.LBB42_22:                              ; =>This Inner Loop Header: Depth=1
	global_load_dwordx2 v[17:18], v[12:13], off
	global_load_dwordx2 v[19:20], v[14:15], off offset:-4
	v_add_co_u32 v9, vcc_lo, v9, 4
	v_add_co_ci_u32_e64 v10, null, 0, v10, vcc_lo
	v_add_co_u32 v14, vcc_lo, v14, s4
	v_add_co_ci_u32_e64 v15, null, s5, v15, vcc_lo
	v_cmp_le_i64_e64 s0, s[8:9], v[9:10]
	v_add_co_u32 v12, vcc_lo, v12, s6
	v_add_co_ci_u32_e64 v13, null, s7, v13, vcc_lo
	s_or_b32 s10, s0, s10
	s_waitcnt vmcnt(0)
	v_mul_f32_e64 v0, v20, -v18
	v_mul_f32_e32 v20, v20, v17
	v_fmac_f32_e32 v0, v17, v19
	v_fmac_f32_e32 v20, v18, v19
	v_add_f32_e32 v11, v11, v0
	v_add_f32_e32 v8, v8, v20
	s_andn2_b32 exec_lo, exec_lo, s10
	s_cbranch_execnz .LBB42_22
; %bb.23:
	s_or_b32 exec_lo, exec_lo, s10
.LBB42_24:
	s_or_b32 exec_lo, exec_lo, s1
	v_lshlrev_b32_e32 v0, 5, v16
	v_mov_b32_e32 v12, v8
	s_mov_b32 s0, exec_lo
	v_lshl_or_b32 v8, v7, 3, v0
	ds_write_b64 v8, v[11:12]
	s_waitcnt lgkmcnt(0)
	s_barrier
	buffer_gl0_inv
	v_cmpx_gt_u32_e32 2, v7
	s_cbranch_execz .LBB42_26
; %bb.25:
	ds_read2_b64 v[9:12], v8 offset1:2
	s_waitcnt lgkmcnt(0)
	v_add_f32_e32 v9, v11, v9
	v_add_f32_e32 v10, v12, v10
	ds_write_b64 v8, v[9:10]
.LBB42_26:
	s_or_b32 exec_lo, exec_lo, s0
	v_cmp_eq_u32_e32 vcc_lo, 0, v7
	s_waitcnt lgkmcnt(0)
	s_barrier
	buffer_gl0_inv
	s_and_saveexec_b32 s0, vcc_lo
	s_cbranch_execz .LBB42_28
; %bb.27:
	ds_read2_b64 v[9:12], v8 offset1:1
	s_waitcnt lgkmcnt(0)
	v_add_f32_e32 v9, v11, v9
	v_add_f32_e32 v10, v12, v10
	ds_write_b64 v8, v[9:10]
.LBB42_28:
	s_or_b32 exec_lo, exec_lo, s0
	s_waitcnt lgkmcnt(0)
	s_barrier
	buffer_gl0_inv
	s_and_b32 exec_lo, exec_lo, vcc_lo
	s_cbranch_execz .LBB42_30
; %bb.29:
	v_add_co_u32 v5, vcc_lo, s2, v5
	v_add_co_ci_u32_e64 v6, null, s3, v6, vcc_lo
	ds_read_b64 v[9:10], v0
	global_load_dwordx2 v[7:8], v[5:6], off
	s_waitcnt lgkmcnt(0)
	v_mul_f32_e64 v0, v10, -v2
	v_mul_f32_e32 v10, v10, v1
	v_fmac_f32_e32 v0, v1, v9
	v_fmac_f32_e32 v10, v2, v9
	s_waitcnt vmcnt(0)
	v_mul_f32_e64 v11, v4, -v8
	v_mul_f32_e32 v4, v4, v7
	v_fmac_f32_e32 v11, v7, v3
	v_fmac_f32_e32 v4, v8, v3
	v_add_f32_e32 v0, v0, v11
	v_add_f32_e32 v1, v10, v4
	global_store_dwordx2 v[5:6], v[0:1], off
.LBB42_30:
	s_endpgm
	.section	.rodata,"a",@progbits
	.p2align	6, 0x0
	.amdhsa_kernel _ZN9rocsparseL17sddmm_coox_kernelILi512ELi4ELb0E21rocsparse_complex_numIfEllS2_S2_S2_EEv20rocsparse_operation_S3_16rocsparse_order_S4_T4_S5_S5_T3_NS_24const_host_device_scalarIT2_EEPKT5_lPKT6_lS9_PT7_PKS6_SJ_21rocsparse_index_base_b
		.amdhsa_group_segment_fixed_size 4096
		.amdhsa_private_segment_fixed_size 0
		.amdhsa_kernarg_size 128
		.amdhsa_user_sgpr_count 6
		.amdhsa_user_sgpr_private_segment_buffer 1
		.amdhsa_user_sgpr_dispatch_ptr 0
		.amdhsa_user_sgpr_queue_ptr 0
		.amdhsa_user_sgpr_kernarg_segment_ptr 1
		.amdhsa_user_sgpr_dispatch_id 0
		.amdhsa_user_sgpr_flat_scratch_init 0
		.amdhsa_user_sgpr_private_segment_size 0
		.amdhsa_wavefront_size32 1
		.amdhsa_uses_dynamic_stack 0
		.amdhsa_system_sgpr_private_segment_wavefront_offset 0
		.amdhsa_system_sgpr_workgroup_id_x 1
		.amdhsa_system_sgpr_workgroup_id_y 0
		.amdhsa_system_sgpr_workgroup_id_z 0
		.amdhsa_system_sgpr_workgroup_info 0
		.amdhsa_system_vgpr_workitem_id 0
		.amdhsa_next_free_vgpr 21
		.amdhsa_next_free_sgpr 18
		.amdhsa_reserve_vcc 1
		.amdhsa_reserve_flat_scratch 0
		.amdhsa_float_round_mode_32 0
		.amdhsa_float_round_mode_16_64 0
		.amdhsa_float_denorm_mode_32 3
		.amdhsa_float_denorm_mode_16_64 3
		.amdhsa_dx10_clamp 1
		.amdhsa_ieee_mode 1
		.amdhsa_fp16_overflow 0
		.amdhsa_workgroup_processor_mode 1
		.amdhsa_memory_ordered 1
		.amdhsa_forward_progress 1
		.amdhsa_shared_vgpr_count 0
		.amdhsa_exception_fp_ieee_invalid_op 0
		.amdhsa_exception_fp_denorm_src 0
		.amdhsa_exception_fp_ieee_div_zero 0
		.amdhsa_exception_fp_ieee_overflow 0
		.amdhsa_exception_fp_ieee_underflow 0
		.amdhsa_exception_fp_ieee_inexact 0
		.amdhsa_exception_int_div_zero 0
	.end_amdhsa_kernel
	.section	.text._ZN9rocsparseL17sddmm_coox_kernelILi512ELi4ELb0E21rocsparse_complex_numIfEllS2_S2_S2_EEv20rocsparse_operation_S3_16rocsparse_order_S4_T4_S5_S5_T3_NS_24const_host_device_scalarIT2_EEPKT5_lPKT6_lS9_PT7_PKS6_SJ_21rocsparse_index_base_b,"axG",@progbits,_ZN9rocsparseL17sddmm_coox_kernelILi512ELi4ELb0E21rocsparse_complex_numIfEllS2_S2_S2_EEv20rocsparse_operation_S3_16rocsparse_order_S4_T4_S5_S5_T3_NS_24const_host_device_scalarIT2_EEPKT5_lPKT6_lS9_PT7_PKS6_SJ_21rocsparse_index_base_b,comdat
.Lfunc_end42:
	.size	_ZN9rocsparseL17sddmm_coox_kernelILi512ELi4ELb0E21rocsparse_complex_numIfEllS2_S2_S2_EEv20rocsparse_operation_S3_16rocsparse_order_S4_T4_S5_S5_T3_NS_24const_host_device_scalarIT2_EEPKT5_lPKT6_lS9_PT7_PKS6_SJ_21rocsparse_index_base_b, .Lfunc_end42-_ZN9rocsparseL17sddmm_coox_kernelILi512ELi4ELb0E21rocsparse_complex_numIfEllS2_S2_S2_EEv20rocsparse_operation_S3_16rocsparse_order_S4_T4_S5_S5_T3_NS_24const_host_device_scalarIT2_EEPKT5_lPKT6_lS9_PT7_PKS6_SJ_21rocsparse_index_base_b
                                        ; -- End function
	.set _ZN9rocsparseL17sddmm_coox_kernelILi512ELi4ELb0E21rocsparse_complex_numIfEllS2_S2_S2_EEv20rocsparse_operation_S3_16rocsparse_order_S4_T4_S5_S5_T3_NS_24const_host_device_scalarIT2_EEPKT5_lPKT6_lS9_PT7_PKS6_SJ_21rocsparse_index_base_b.num_vgpr, 21
	.set _ZN9rocsparseL17sddmm_coox_kernelILi512ELi4ELb0E21rocsparse_complex_numIfEllS2_S2_S2_EEv20rocsparse_operation_S3_16rocsparse_order_S4_T4_S5_S5_T3_NS_24const_host_device_scalarIT2_EEPKT5_lPKT6_lS9_PT7_PKS6_SJ_21rocsparse_index_base_b.num_agpr, 0
	.set _ZN9rocsparseL17sddmm_coox_kernelILi512ELi4ELb0E21rocsparse_complex_numIfEllS2_S2_S2_EEv20rocsparse_operation_S3_16rocsparse_order_S4_T4_S5_S5_T3_NS_24const_host_device_scalarIT2_EEPKT5_lPKT6_lS9_PT7_PKS6_SJ_21rocsparse_index_base_b.numbered_sgpr, 18
	.set _ZN9rocsparseL17sddmm_coox_kernelILi512ELi4ELb0E21rocsparse_complex_numIfEllS2_S2_S2_EEv20rocsparse_operation_S3_16rocsparse_order_S4_T4_S5_S5_T3_NS_24const_host_device_scalarIT2_EEPKT5_lPKT6_lS9_PT7_PKS6_SJ_21rocsparse_index_base_b.num_named_barrier, 0
	.set _ZN9rocsparseL17sddmm_coox_kernelILi512ELi4ELb0E21rocsparse_complex_numIfEllS2_S2_S2_EEv20rocsparse_operation_S3_16rocsparse_order_S4_T4_S5_S5_T3_NS_24const_host_device_scalarIT2_EEPKT5_lPKT6_lS9_PT7_PKS6_SJ_21rocsparse_index_base_b.private_seg_size, 0
	.set _ZN9rocsparseL17sddmm_coox_kernelILi512ELi4ELb0E21rocsparse_complex_numIfEllS2_S2_S2_EEv20rocsparse_operation_S3_16rocsparse_order_S4_T4_S5_S5_T3_NS_24const_host_device_scalarIT2_EEPKT5_lPKT6_lS9_PT7_PKS6_SJ_21rocsparse_index_base_b.uses_vcc, 1
	.set _ZN9rocsparseL17sddmm_coox_kernelILi512ELi4ELb0E21rocsparse_complex_numIfEllS2_S2_S2_EEv20rocsparse_operation_S3_16rocsparse_order_S4_T4_S5_S5_T3_NS_24const_host_device_scalarIT2_EEPKT5_lPKT6_lS9_PT7_PKS6_SJ_21rocsparse_index_base_b.uses_flat_scratch, 0
	.set _ZN9rocsparseL17sddmm_coox_kernelILi512ELi4ELb0E21rocsparse_complex_numIfEllS2_S2_S2_EEv20rocsparse_operation_S3_16rocsparse_order_S4_T4_S5_S5_T3_NS_24const_host_device_scalarIT2_EEPKT5_lPKT6_lS9_PT7_PKS6_SJ_21rocsparse_index_base_b.has_dyn_sized_stack, 0
	.set _ZN9rocsparseL17sddmm_coox_kernelILi512ELi4ELb0E21rocsparse_complex_numIfEllS2_S2_S2_EEv20rocsparse_operation_S3_16rocsparse_order_S4_T4_S5_S5_T3_NS_24const_host_device_scalarIT2_EEPKT5_lPKT6_lS9_PT7_PKS6_SJ_21rocsparse_index_base_b.has_recursion, 0
	.set _ZN9rocsparseL17sddmm_coox_kernelILi512ELi4ELb0E21rocsparse_complex_numIfEllS2_S2_S2_EEv20rocsparse_operation_S3_16rocsparse_order_S4_T4_S5_S5_T3_NS_24const_host_device_scalarIT2_EEPKT5_lPKT6_lS9_PT7_PKS6_SJ_21rocsparse_index_base_b.has_indirect_call, 0
	.section	.AMDGPU.csdata,"",@progbits
; Kernel info:
; codeLenInByte = 1288
; TotalNumSgprs: 20
; NumVgprs: 21
; ScratchSize: 0
; MemoryBound: 0
; FloatMode: 240
; IeeeMode: 1
; LDSByteSize: 4096 bytes/workgroup (compile time only)
; SGPRBlocks: 0
; VGPRBlocks: 2
; NumSGPRsForWavesPerEU: 20
; NumVGPRsForWavesPerEU: 21
; Occupancy: 16
; WaveLimiterHint : 0
; COMPUTE_PGM_RSRC2:SCRATCH_EN: 0
; COMPUTE_PGM_RSRC2:USER_SGPR: 6
; COMPUTE_PGM_RSRC2:TRAP_HANDLER: 0
; COMPUTE_PGM_RSRC2:TGID_X_EN: 1
; COMPUTE_PGM_RSRC2:TGID_Y_EN: 0
; COMPUTE_PGM_RSRC2:TGID_Z_EN: 0
; COMPUTE_PGM_RSRC2:TIDIG_COMP_CNT: 0
	.section	.text._ZN9rocsparseL17sddmm_coox_kernelILi512ELi2ELb0E21rocsparse_complex_numIfEllS2_S2_S2_EEv20rocsparse_operation_S3_16rocsparse_order_S4_T4_S5_S5_T3_NS_24const_host_device_scalarIT2_EEPKT5_lPKT6_lS9_PT7_PKS6_SJ_21rocsparse_index_base_b,"axG",@progbits,_ZN9rocsparseL17sddmm_coox_kernelILi512ELi2ELb0E21rocsparse_complex_numIfEllS2_S2_S2_EEv20rocsparse_operation_S3_16rocsparse_order_S4_T4_S5_S5_T3_NS_24const_host_device_scalarIT2_EEPKT5_lPKT6_lS9_PT7_PKS6_SJ_21rocsparse_index_base_b,comdat
	.globl	_ZN9rocsparseL17sddmm_coox_kernelILi512ELi2ELb0E21rocsparse_complex_numIfEllS2_S2_S2_EEv20rocsparse_operation_S3_16rocsparse_order_S4_T4_S5_S5_T3_NS_24const_host_device_scalarIT2_EEPKT5_lPKT6_lS9_PT7_PKS6_SJ_21rocsparse_index_base_b ; -- Begin function _ZN9rocsparseL17sddmm_coox_kernelILi512ELi2ELb0E21rocsparse_complex_numIfEllS2_S2_S2_EEv20rocsparse_operation_S3_16rocsparse_order_S4_T4_S5_S5_T3_NS_24const_host_device_scalarIT2_EEPKT5_lPKT6_lS9_PT7_PKS6_SJ_21rocsparse_index_base_b
	.p2align	8
	.type	_ZN9rocsparseL17sddmm_coox_kernelILi512ELi2ELb0E21rocsparse_complex_numIfEllS2_S2_S2_EEv20rocsparse_operation_S3_16rocsparse_order_S4_T4_S5_S5_T3_NS_24const_host_device_scalarIT2_EEPKT5_lPKT6_lS9_PT7_PKS6_SJ_21rocsparse_index_base_b,@function
_ZN9rocsparseL17sddmm_coox_kernelILi512ELi2ELb0E21rocsparse_complex_numIfEllS2_S2_S2_EEv20rocsparse_operation_S3_16rocsparse_order_S4_T4_S5_S5_T3_NS_24const_host_device_scalarIT2_EEPKT5_lPKT6_lS9_PT7_PKS6_SJ_21rocsparse_index_base_b: ; @_ZN9rocsparseL17sddmm_coox_kernelILi512ELi2ELb0E21rocsparse_complex_numIfEllS2_S2_S2_EEv20rocsparse_operation_S3_16rocsparse_order_S4_T4_S5_S5_T3_NS_24const_host_device_scalarIT2_EEPKT5_lPKT6_lS9_PT7_PKS6_SJ_21rocsparse_index_base_b
; %bb.0:
	s_clause 0x2
	s_load_dwordx2 s[16:17], s[4:5], 0x78
	s_load_dwordx2 s[0:1], s[4:5], 0x30
	s_load_dwordx4 s[12:15], s[4:5], 0x50
	s_add_u32 s2, s4, 48
	s_addc_u32 s3, s5, 0
	s_add_u32 s7, s4, 0x58
	s_addc_u32 s8, s5, 0
	s_waitcnt lgkmcnt(0)
	s_bitcmp1_b32 s17, 0
	s_cselect_b32 s0, s2, s0
	s_cselect_b32 s1, s3, s1
	v_mov_b32_e32 v1, s0
	v_mov_b32_e32 v2, s1
	s_cselect_b32 s0, s7, s14
	s_cselect_b32 s1, s8, s15
	v_mov_b32_e32 v3, s0
	v_mov_b32_e32 v4, s1
	flat_load_dwordx2 v[1:2], v[1:2]
	s_mov_b32 s0, -1
	s_mov_b32 s1, exec_lo
	flat_load_dwordx2 v[3:4], v[3:4]
	s_waitcnt vmcnt(1) lgkmcnt(1)
	v_or_b32_e32 v5, v1, v2
	v_and_b32_e32 v5, 0x7fffffff, v5
	v_cmpx_eq_u32_e32 0, v5
	s_cbranch_execz .LBB43_2
; %bb.1:
	s_waitcnt vmcnt(0) lgkmcnt(0)
	v_cmp_neq_f32_e32 vcc_lo, 1.0, v3
	v_cmp_neq_f32_e64 s0, 0, v4
	s_or_b32 s0, vcc_lo, s0
	s_orn2_b32 s0, s0, exec_lo
.LBB43_2:
	s_or_b32 exec_lo, exec_lo, s1
	s_and_saveexec_b32 s1, s0
	s_cbranch_execz .LBB43_28
; %bb.3:
	s_load_dwordx4 s[8:11], s[4:5], 0x20
	v_lshrrev_b32_e32 v16, 1, v0
	v_mov_b32_e32 v6, 0
	v_lshl_or_b32 v5, s6, 8, v16
	s_waitcnt lgkmcnt(0)
	v_cmp_gt_i64_e32 vcc_lo, s[10:11], v[5:6]
	s_and_b32 exec_lo, exec_lo, vcc_lo
	s_cbranch_execz .LBB43_28
; %bb.4:
	s_load_dwordx4 s[0:3], s[4:5], 0x68
	v_lshlrev_b64 v[5:6], 3, v[5:6]
	s_waitcnt lgkmcnt(0)
	v_add_co_u32 v7, vcc_lo, s0, v5
	v_add_co_ci_u32_e64 v8, null, s1, v6, vcc_lo
	v_add_co_u32 v9, vcc_lo, s2, v5
	v_add_co_ci_u32_e64 v10, null, s3, v6, vcc_lo
	global_load_dwordx2 v[7:8], v[7:8], off
	global_load_dwordx2 v[9:10], v[9:10], off
	s_clause 0x1
	s_load_dwordx4 s[0:3], s[4:5], 0x0
	s_load_dwordx2 s[6:7], s[4:5], 0x40
	s_waitcnt lgkmcnt(0)
	s_cmp_eq_u32 s2, 1
	s_cselect_b32 s10, -1, 0
	s_cmpk_eq_i32 s0, 0x6f
	s_cselect_b32 s11, -1, 0
	s_cmpk_lg_i32 s0, 0x6f
	s_cselect_b32 s0, -1, 0
	s_cmp_lg_u32 s2, 1
	s_waitcnt vmcnt(1)
	v_sub_co_u32 v11, vcc_lo, v7, s16
	v_subrev_co_ci_u32_e64 v12, null, 0, v8, vcc_lo
	s_cbranch_scc0 .LBB43_8
; %bb.5:
	v_mov_b32_e32 v7, v11
	v_mov_b32_e32 v8, v12
	s_andn2_b32 vcc_lo, exec_lo, s11
	s_cbranch_vccnz .LBB43_7
; %bb.6:
	v_mul_lo_u32 v13, v12, s6
	v_mul_lo_u32 v14, v11, s7
	v_mad_u64_u32 v[7:8], null, v11, s6, 0
	v_add3_u32 v8, v8, v14, v13
.LBB43_7:
	s_cbranch_execz .LBB43_9
	s_branch .LBB43_12
.LBB43_8:
                                        ; implicit-def: $vgpr7_vgpr8
.LBB43_9:
	s_andn2_b32 vcc_lo, exec_lo, s0
	s_cbranch_vccnz .LBB43_11
; %bb.10:
	v_mul_lo_u32 v7, v12, s6
	v_mul_lo_u32 v8, v11, s7
	v_mad_u64_u32 v[11:12], null, v11, s6, 0
	v_add3_u32 v12, v12, v8, v7
.LBB43_11:
	v_mov_b32_e32 v7, v11
	v_mov_b32_e32 v8, v12
.LBB43_12:
	s_cmp_eq_u32 s3, 1
	s_waitcnt vmcnt(0)
	v_sub_co_u32 v9, vcc_lo, v9, s16
	s_cselect_b32 s0, -1, 0
	s_cmpk_eq_i32 s1, 0x6f
	v_subrev_co_ci_u32_e64 v10, null, 0, v10, vcc_lo
	s_cselect_b32 s14, -1, 0
	s_cmpk_lg_i32 s1, 0x6f
	s_cselect_b32 s1, -1, 0
	s_cmp_lg_u32 s3, 1
	s_cbranch_scc0 .LBB43_16
; %bb.13:
	v_mov_b32_e32 v13, v10
	v_mov_b32_e32 v12, v9
	s_andn2_b32 vcc_lo, exec_lo, s1
	s_cbranch_vccnz .LBB43_15
; %bb.14:
	v_mul_lo_u32 v11, v10, s12
	v_mul_lo_u32 v14, v9, s13
	v_mad_u64_u32 v[12:13], null, v9, s12, 0
	v_add3_u32 v13, v13, v14, v11
.LBB43_15:
	s_cbranch_execz .LBB43_17
	s_branch .LBB43_20
.LBB43_16:
                                        ; implicit-def: $vgpr12_vgpr13
.LBB43_17:
	s_andn2_b32 vcc_lo, exec_lo, s14
	s_cbranch_vccnz .LBB43_19
; %bb.18:
	v_mul_lo_u32 v11, v10, s12
	v_mul_lo_u32 v12, v9, s13
	v_mad_u64_u32 v[9:10], null, v9, s12, 0
	v_add3_u32 v10, v10, v12, v11
.LBB43_19:
	v_mov_b32_e32 v13, v10
	v_mov_b32_e32 v12, v9
.LBB43_20:
	s_load_dwordx2 s[2:3], s[4:5], 0x60
	v_mov_b32_e32 v10, 0
	v_and_b32_e32 v9, 1, v0
	s_mov_b32 s1, exec_lo
	v_mov_b32_e32 v11, v10
	v_cmpx_gt_i64_e64 s[8:9], v[9:10]
	s_cbranch_execz .LBB43_24
; %bb.21:
	s_xor_b32 s10, s11, s10
	v_lshlrev_b64 v[11:12], 3, v[12:13]
	s_and_b32 s10, s10, exec_lo
	s_cselect_b32 s7, 0, s7
	s_cselect_b32 s6, 1, s6
	s_xor_b32 s0, s14, s0
	s_load_dwordx2 s[10:11], s[4:5], 0x48
	s_and_b32 s0, s0, exec_lo
	s_cselect_b32 s13, s13, 0
	s_cselect_b32 s12, s12, 1
	v_mul_lo_u32 v15, s13, v9
	v_mul_lo_u32 v14, s12, v9
	s_load_dwordx2 s[4:5], s[4:5], 0x38
	v_mul_lo_u32 v18, s7, v9
	v_mul_lo_u32 v17, s6, v9
	s_lshl_b64 s[6:7], s[6:7], 4
	v_lshlrev_b64 v[13:14], 3, v[14:15]
	v_add_co_u32 v0, vcc_lo, v13, v11
	v_add_co_ci_u32_e64 v13, null, v14, v12, vcc_lo
	v_lshlrev_b64 v[11:12], 3, v[7:8]
	s_waitcnt lgkmcnt(0)
	v_add_co_u32 v0, vcc_lo, s10, v0
	v_add_co_ci_u32_e64 v8, null, s11, v13, vcc_lo
	v_lshlrev_b64 v[13:14], 3, v[17:18]
	v_add_co_u32 v7, vcc_lo, v0, 4
	v_add_co_ci_u32_e64 v8, null, 0, v8, vcc_lo
	s_mov_b32 s10, 0
	v_add_co_u32 v0, vcc_lo, v13, v11
	v_add_co_ci_u32_e64 v13, null, v14, v12, vcc_lo
	v_mov_b32_e32 v11, 0
	v_add_co_u32 v12, vcc_lo, s4, v0
	v_mov_b32_e32 v15, v10
	v_add_co_ci_u32_e64 v13, null, s5, v13, vcc_lo
	v_mov_b32_e32 v14, v9
	v_mov_b32_e32 v10, v11
	s_lshl_b64 s[4:5], s[12:13], 4
	.p2align	6
.LBB43_22:                              ; =>This Inner Loop Header: Depth=1
	global_load_dwordx2 v[17:18], v[12:13], off
	global_load_dwordx2 v[19:20], v[7:8], off offset:-4
	v_add_co_u32 v14, vcc_lo, v14, 2
	v_add_co_ci_u32_e64 v15, null, 0, v15, vcc_lo
	v_add_co_u32 v7, vcc_lo, v7, s4
	v_add_co_ci_u32_e64 v8, null, s5, v8, vcc_lo
	v_cmp_le_i64_e64 s0, s[8:9], v[14:15]
	v_add_co_u32 v12, vcc_lo, v12, s6
	v_add_co_ci_u32_e64 v13, null, s7, v13, vcc_lo
	s_or_b32 s10, s0, s10
	s_waitcnt vmcnt(0)
	v_mul_f32_e64 v0, v20, -v18
	v_mul_f32_e32 v20, v20, v17
	v_fmac_f32_e32 v0, v17, v19
	v_fmac_f32_e32 v20, v18, v19
	v_add_f32_e32 v11, v11, v0
	v_add_f32_e32 v10, v10, v20
	s_andn2_b32 exec_lo, exec_lo, s10
	s_cbranch_execnz .LBB43_22
; %bb.23:
	s_or_b32 exec_lo, exec_lo, s10
.LBB43_24:
	s_or_b32 exec_lo, exec_lo, s1
	v_lshlrev_b32_e32 v0, 4, v16
	v_mov_b32_e32 v12, v10
	v_cmp_eq_u32_e32 vcc_lo, 0, v9
	v_lshl_or_b32 v7, v9, 3, v0
	ds_write_b64 v7, v[11:12]
	s_waitcnt lgkmcnt(0)
	s_barrier
	buffer_gl0_inv
	s_and_saveexec_b32 s0, vcc_lo
	s_cbranch_execz .LBB43_26
; %bb.25:
	ds_read_b64 v[8:9], v0 offset:8
	ds_read_b64 v[10:11], v7
	s_waitcnt lgkmcnt(0)
	v_add_f32_e32 v8, v8, v10
	v_add_f32_e32 v9, v9, v11
	ds_write_b64 v7, v[8:9]
.LBB43_26:
	s_or_b32 exec_lo, exec_lo, s0
	s_waitcnt lgkmcnt(0)
	s_barrier
	buffer_gl0_inv
	s_and_b32 exec_lo, exec_lo, vcc_lo
	s_cbranch_execz .LBB43_28
; %bb.27:
	v_add_co_u32 v5, vcc_lo, s2, v5
	v_add_co_ci_u32_e64 v6, null, s3, v6, vcc_lo
	ds_read_b64 v[9:10], v0
	global_load_dwordx2 v[7:8], v[5:6], off
	s_waitcnt lgkmcnt(0)
	v_mul_f32_e64 v0, v10, -v2
	v_mul_f32_e32 v10, v10, v1
	v_fmac_f32_e32 v0, v1, v9
	v_fmac_f32_e32 v10, v2, v9
	s_waitcnt vmcnt(0)
	v_mul_f32_e64 v11, v4, -v8
	v_mul_f32_e32 v4, v4, v7
	v_fmac_f32_e32 v11, v7, v3
	v_fmac_f32_e32 v4, v8, v3
	v_add_f32_e32 v0, v0, v11
	v_add_f32_e32 v1, v10, v4
	global_store_dwordx2 v[5:6], v[0:1], off
.LBB43_28:
	s_endpgm
	.section	.rodata,"a",@progbits
	.p2align	6, 0x0
	.amdhsa_kernel _ZN9rocsparseL17sddmm_coox_kernelILi512ELi2ELb0E21rocsparse_complex_numIfEllS2_S2_S2_EEv20rocsparse_operation_S3_16rocsparse_order_S4_T4_S5_S5_T3_NS_24const_host_device_scalarIT2_EEPKT5_lPKT6_lS9_PT7_PKS6_SJ_21rocsparse_index_base_b
		.amdhsa_group_segment_fixed_size 4096
		.amdhsa_private_segment_fixed_size 0
		.amdhsa_kernarg_size 128
		.amdhsa_user_sgpr_count 6
		.amdhsa_user_sgpr_private_segment_buffer 1
		.amdhsa_user_sgpr_dispatch_ptr 0
		.amdhsa_user_sgpr_queue_ptr 0
		.amdhsa_user_sgpr_kernarg_segment_ptr 1
		.amdhsa_user_sgpr_dispatch_id 0
		.amdhsa_user_sgpr_flat_scratch_init 0
		.amdhsa_user_sgpr_private_segment_size 0
		.amdhsa_wavefront_size32 1
		.amdhsa_uses_dynamic_stack 0
		.amdhsa_system_sgpr_private_segment_wavefront_offset 0
		.amdhsa_system_sgpr_workgroup_id_x 1
		.amdhsa_system_sgpr_workgroup_id_y 0
		.amdhsa_system_sgpr_workgroup_id_z 0
		.amdhsa_system_sgpr_workgroup_info 0
		.amdhsa_system_vgpr_workitem_id 0
		.amdhsa_next_free_vgpr 21
		.amdhsa_next_free_sgpr 18
		.amdhsa_reserve_vcc 1
		.amdhsa_reserve_flat_scratch 0
		.amdhsa_float_round_mode_32 0
		.amdhsa_float_round_mode_16_64 0
		.amdhsa_float_denorm_mode_32 3
		.amdhsa_float_denorm_mode_16_64 3
		.amdhsa_dx10_clamp 1
		.amdhsa_ieee_mode 1
		.amdhsa_fp16_overflow 0
		.amdhsa_workgroup_processor_mode 1
		.amdhsa_memory_ordered 1
		.amdhsa_forward_progress 1
		.amdhsa_shared_vgpr_count 0
		.amdhsa_exception_fp_ieee_invalid_op 0
		.amdhsa_exception_fp_denorm_src 0
		.amdhsa_exception_fp_ieee_div_zero 0
		.amdhsa_exception_fp_ieee_overflow 0
		.amdhsa_exception_fp_ieee_underflow 0
		.amdhsa_exception_fp_ieee_inexact 0
		.amdhsa_exception_int_div_zero 0
	.end_amdhsa_kernel
	.section	.text._ZN9rocsparseL17sddmm_coox_kernelILi512ELi2ELb0E21rocsparse_complex_numIfEllS2_S2_S2_EEv20rocsparse_operation_S3_16rocsparse_order_S4_T4_S5_S5_T3_NS_24const_host_device_scalarIT2_EEPKT5_lPKT6_lS9_PT7_PKS6_SJ_21rocsparse_index_base_b,"axG",@progbits,_ZN9rocsparseL17sddmm_coox_kernelILi512ELi2ELb0E21rocsparse_complex_numIfEllS2_S2_S2_EEv20rocsparse_operation_S3_16rocsparse_order_S4_T4_S5_S5_T3_NS_24const_host_device_scalarIT2_EEPKT5_lPKT6_lS9_PT7_PKS6_SJ_21rocsparse_index_base_b,comdat
.Lfunc_end43:
	.size	_ZN9rocsparseL17sddmm_coox_kernelILi512ELi2ELb0E21rocsparse_complex_numIfEllS2_S2_S2_EEv20rocsparse_operation_S3_16rocsparse_order_S4_T4_S5_S5_T3_NS_24const_host_device_scalarIT2_EEPKT5_lPKT6_lS9_PT7_PKS6_SJ_21rocsparse_index_base_b, .Lfunc_end43-_ZN9rocsparseL17sddmm_coox_kernelILi512ELi2ELb0E21rocsparse_complex_numIfEllS2_S2_S2_EEv20rocsparse_operation_S3_16rocsparse_order_S4_T4_S5_S5_T3_NS_24const_host_device_scalarIT2_EEPKT5_lPKT6_lS9_PT7_PKS6_SJ_21rocsparse_index_base_b
                                        ; -- End function
	.set _ZN9rocsparseL17sddmm_coox_kernelILi512ELi2ELb0E21rocsparse_complex_numIfEllS2_S2_S2_EEv20rocsparse_operation_S3_16rocsparse_order_S4_T4_S5_S5_T3_NS_24const_host_device_scalarIT2_EEPKT5_lPKT6_lS9_PT7_PKS6_SJ_21rocsparse_index_base_b.num_vgpr, 21
	.set _ZN9rocsparseL17sddmm_coox_kernelILi512ELi2ELb0E21rocsparse_complex_numIfEllS2_S2_S2_EEv20rocsparse_operation_S3_16rocsparse_order_S4_T4_S5_S5_T3_NS_24const_host_device_scalarIT2_EEPKT5_lPKT6_lS9_PT7_PKS6_SJ_21rocsparse_index_base_b.num_agpr, 0
	.set _ZN9rocsparseL17sddmm_coox_kernelILi512ELi2ELb0E21rocsparse_complex_numIfEllS2_S2_S2_EEv20rocsparse_operation_S3_16rocsparse_order_S4_T4_S5_S5_T3_NS_24const_host_device_scalarIT2_EEPKT5_lPKT6_lS9_PT7_PKS6_SJ_21rocsparse_index_base_b.numbered_sgpr, 18
	.set _ZN9rocsparseL17sddmm_coox_kernelILi512ELi2ELb0E21rocsparse_complex_numIfEllS2_S2_S2_EEv20rocsparse_operation_S3_16rocsparse_order_S4_T4_S5_S5_T3_NS_24const_host_device_scalarIT2_EEPKT5_lPKT6_lS9_PT7_PKS6_SJ_21rocsparse_index_base_b.num_named_barrier, 0
	.set _ZN9rocsparseL17sddmm_coox_kernelILi512ELi2ELb0E21rocsparse_complex_numIfEllS2_S2_S2_EEv20rocsparse_operation_S3_16rocsparse_order_S4_T4_S5_S5_T3_NS_24const_host_device_scalarIT2_EEPKT5_lPKT6_lS9_PT7_PKS6_SJ_21rocsparse_index_base_b.private_seg_size, 0
	.set _ZN9rocsparseL17sddmm_coox_kernelILi512ELi2ELb0E21rocsparse_complex_numIfEllS2_S2_S2_EEv20rocsparse_operation_S3_16rocsparse_order_S4_T4_S5_S5_T3_NS_24const_host_device_scalarIT2_EEPKT5_lPKT6_lS9_PT7_PKS6_SJ_21rocsparse_index_base_b.uses_vcc, 1
	.set _ZN9rocsparseL17sddmm_coox_kernelILi512ELi2ELb0E21rocsparse_complex_numIfEllS2_S2_S2_EEv20rocsparse_operation_S3_16rocsparse_order_S4_T4_S5_S5_T3_NS_24const_host_device_scalarIT2_EEPKT5_lPKT6_lS9_PT7_PKS6_SJ_21rocsparse_index_base_b.uses_flat_scratch, 0
	.set _ZN9rocsparseL17sddmm_coox_kernelILi512ELi2ELb0E21rocsparse_complex_numIfEllS2_S2_S2_EEv20rocsparse_operation_S3_16rocsparse_order_S4_T4_S5_S5_T3_NS_24const_host_device_scalarIT2_EEPKT5_lPKT6_lS9_PT7_PKS6_SJ_21rocsparse_index_base_b.has_dyn_sized_stack, 0
	.set _ZN9rocsparseL17sddmm_coox_kernelILi512ELi2ELb0E21rocsparse_complex_numIfEllS2_S2_S2_EEv20rocsparse_operation_S3_16rocsparse_order_S4_T4_S5_S5_T3_NS_24const_host_device_scalarIT2_EEPKT5_lPKT6_lS9_PT7_PKS6_SJ_21rocsparse_index_base_b.has_recursion, 0
	.set _ZN9rocsparseL17sddmm_coox_kernelILi512ELi2ELb0E21rocsparse_complex_numIfEllS2_S2_S2_EEv20rocsparse_operation_S3_16rocsparse_order_S4_T4_S5_S5_T3_NS_24const_host_device_scalarIT2_EEPKT5_lPKT6_lS9_PT7_PKS6_SJ_21rocsparse_index_base_b.has_indirect_call, 0
	.section	.AMDGPU.csdata,"",@progbits
; Kernel info:
; codeLenInByte = 1236
; TotalNumSgprs: 20
; NumVgprs: 21
; ScratchSize: 0
; MemoryBound: 0
; FloatMode: 240
; IeeeMode: 1
; LDSByteSize: 4096 bytes/workgroup (compile time only)
; SGPRBlocks: 0
; VGPRBlocks: 2
; NumSGPRsForWavesPerEU: 20
; NumVGPRsForWavesPerEU: 21
; Occupancy: 16
; WaveLimiterHint : 0
; COMPUTE_PGM_RSRC2:SCRATCH_EN: 0
; COMPUTE_PGM_RSRC2:USER_SGPR: 6
; COMPUTE_PGM_RSRC2:TRAP_HANDLER: 0
; COMPUTE_PGM_RSRC2:TGID_X_EN: 1
; COMPUTE_PGM_RSRC2:TGID_Y_EN: 0
; COMPUTE_PGM_RSRC2:TGID_Z_EN: 0
; COMPUTE_PGM_RSRC2:TIDIG_COMP_CNT: 0
	.section	.text._ZN9rocsparseL17sddmm_coox_kernelILi512ELi1ELb0E21rocsparse_complex_numIfEllS2_S2_S2_EEv20rocsparse_operation_S3_16rocsparse_order_S4_T4_S5_S5_T3_NS_24const_host_device_scalarIT2_EEPKT5_lPKT6_lS9_PT7_PKS6_SJ_21rocsparse_index_base_b,"axG",@progbits,_ZN9rocsparseL17sddmm_coox_kernelILi512ELi1ELb0E21rocsparse_complex_numIfEllS2_S2_S2_EEv20rocsparse_operation_S3_16rocsparse_order_S4_T4_S5_S5_T3_NS_24const_host_device_scalarIT2_EEPKT5_lPKT6_lS9_PT7_PKS6_SJ_21rocsparse_index_base_b,comdat
	.globl	_ZN9rocsparseL17sddmm_coox_kernelILi512ELi1ELb0E21rocsparse_complex_numIfEllS2_S2_S2_EEv20rocsparse_operation_S3_16rocsparse_order_S4_T4_S5_S5_T3_NS_24const_host_device_scalarIT2_EEPKT5_lPKT6_lS9_PT7_PKS6_SJ_21rocsparse_index_base_b ; -- Begin function _ZN9rocsparseL17sddmm_coox_kernelILi512ELi1ELb0E21rocsparse_complex_numIfEllS2_S2_S2_EEv20rocsparse_operation_S3_16rocsparse_order_S4_T4_S5_S5_T3_NS_24const_host_device_scalarIT2_EEPKT5_lPKT6_lS9_PT7_PKS6_SJ_21rocsparse_index_base_b
	.p2align	8
	.type	_ZN9rocsparseL17sddmm_coox_kernelILi512ELi1ELb0E21rocsparse_complex_numIfEllS2_S2_S2_EEv20rocsparse_operation_S3_16rocsparse_order_S4_T4_S5_S5_T3_NS_24const_host_device_scalarIT2_EEPKT5_lPKT6_lS9_PT7_PKS6_SJ_21rocsparse_index_base_b,@function
_ZN9rocsparseL17sddmm_coox_kernelILi512ELi1ELb0E21rocsparse_complex_numIfEllS2_S2_S2_EEv20rocsparse_operation_S3_16rocsparse_order_S4_T4_S5_S5_T3_NS_24const_host_device_scalarIT2_EEPKT5_lPKT6_lS9_PT7_PKS6_SJ_21rocsparse_index_base_b: ; @_ZN9rocsparseL17sddmm_coox_kernelILi512ELi1ELb0E21rocsparse_complex_numIfEllS2_S2_S2_EEv20rocsparse_operation_S3_16rocsparse_order_S4_T4_S5_S5_T3_NS_24const_host_device_scalarIT2_EEPKT5_lPKT6_lS9_PT7_PKS6_SJ_21rocsparse_index_base_b
; %bb.0:
	s_clause 0x2
	s_load_dwordx2 s[16:17], s[4:5], 0x78
	s_load_dwordx2 s[0:1], s[4:5], 0x30
	s_load_dwordx4 s[8:11], s[4:5], 0x50
	s_add_u32 s2, s4, 48
	s_addc_u32 s3, s5, 0
	s_add_u32 s7, s4, 0x58
	s_addc_u32 s12, s5, 0
	s_waitcnt lgkmcnt(0)
	s_bitcmp1_b32 s17, 0
	s_cselect_b32 s0, s2, s0
	s_cselect_b32 s1, s3, s1
	v_mov_b32_e32 v1, s0
	v_mov_b32_e32 v2, s1
	s_cselect_b32 s0, s7, s10
	s_cselect_b32 s1, s12, s11
	v_mov_b32_e32 v3, s0
	v_mov_b32_e32 v4, s1
	flat_load_dwordx2 v[1:2], v[1:2]
	s_mov_b32 s0, -1
	s_mov_b32 s1, exec_lo
	flat_load_dwordx2 v[3:4], v[3:4]
	s_waitcnt vmcnt(1) lgkmcnt(1)
	v_or_b32_e32 v5, v1, v2
	v_and_b32_e32 v5, 0x7fffffff, v5
	v_cmpx_eq_u32_e32 0, v5
	s_cbranch_execz .LBB44_2
; %bb.1:
	s_waitcnt vmcnt(0) lgkmcnt(0)
	v_cmp_neq_f32_e32 vcc_lo, 1.0, v3
	v_cmp_neq_f32_e64 s0, 0, v4
	s_or_b32 s0, vcc_lo, s0
	s_orn2_b32 s0, s0, exec_lo
.LBB44_2:
	s_or_b32 exec_lo, exec_lo, s1
	s_and_saveexec_b32 s1, s0
	s_cbranch_execz .LBB44_25
; %bb.3:
	s_load_dwordx4 s[0:3], s[4:5], 0x20
	v_lshl_or_b32 v5, s6, 9, v0
	v_mov_b32_e32 v6, 0
	s_waitcnt lgkmcnt(0)
	v_cmp_gt_i64_e32 vcc_lo, s[2:3], v[5:6]
	s_and_b32 exec_lo, exec_lo, vcc_lo
	s_cbranch_execz .LBB44_25
; %bb.4:
	s_load_dwordx4 s[12:15], s[4:5], 0x68
	v_lshlrev_b64 v[5:6], 3, v[5:6]
	s_waitcnt lgkmcnt(0)
	v_add_co_u32 v7, vcc_lo, s12, v5
	v_add_co_ci_u32_e64 v8, null, s13, v6, vcc_lo
	v_add_co_u32 v9, vcc_lo, s14, v5
	v_add_co_ci_u32_e64 v10, null, s15, v6, vcc_lo
	global_load_dwordx2 v[7:8], v[7:8], off
	global_load_dwordx2 v[9:10], v[9:10], off
	s_clause 0x1
	s_load_dwordx4 s[12:15], s[4:5], 0x0
	s_load_dwordx2 s[2:3], s[4:5], 0x40
	s_waitcnt lgkmcnt(0)
	s_cmp_eq_u32 s14, 1
	s_cselect_b32 s10, -1, 0
	s_cmpk_eq_i32 s12, 0x6f
	s_cselect_b32 s11, -1, 0
	s_cmpk_lg_i32 s12, 0x6f
	s_cselect_b32 s6, -1, 0
	s_cmp_lg_u32 s14, 1
	s_waitcnt vmcnt(1)
	v_sub_co_u32 v11, vcc_lo, v7, s16
	v_subrev_co_ci_u32_e64 v12, null, 0, v8, vcc_lo
	s_cbranch_scc0 .LBB44_8
; %bb.5:
	v_mov_b32_e32 v7, v11
	v_mov_b32_e32 v8, v12
	s_andn2_b32 vcc_lo, exec_lo, s11
	s_cbranch_vccnz .LBB44_7
; %bb.6:
	v_mul_lo_u32 v13, v12, s2
	v_mul_lo_u32 v14, v11, s3
	v_mad_u64_u32 v[7:8], null, v11, s2, 0
	v_add3_u32 v8, v8, v14, v13
.LBB44_7:
	s_cbranch_execz .LBB44_9
	s_branch .LBB44_12
.LBB44_8:
                                        ; implicit-def: $vgpr7_vgpr8
.LBB44_9:
	s_andn2_b32 vcc_lo, exec_lo, s6
	s_cbranch_vccnz .LBB44_11
; %bb.10:
	v_mul_lo_u32 v7, v12, s2
	v_mul_lo_u32 v8, v11, s3
	v_mad_u64_u32 v[11:12], null, v11, s2, 0
	v_add3_u32 v12, v12, v8, v7
.LBB44_11:
	v_mov_b32_e32 v7, v11
	v_mov_b32_e32 v8, v12
.LBB44_12:
	s_cmp_eq_u32 s15, 1
	s_waitcnt vmcnt(0)
	v_sub_co_u32 v9, vcc_lo, v9, s16
	s_cselect_b32 s12, -1, 0
	s_cmpk_eq_i32 s13, 0x6f
	v_subrev_co_ci_u32_e64 v10, null, 0, v10, vcc_lo
	s_cselect_b32 s14, -1, 0
	s_cmpk_lg_i32 s13, 0x6f
	s_cselect_b32 s6, -1, 0
	s_cmp_lg_u32 s15, 1
	s_cbranch_scc0 .LBB44_19
; %bb.13:
	v_mov_b32_e32 v12, v10
	v_mov_b32_e32 v11, v9
	s_andn2_b32 vcc_lo, exec_lo, s6
	s_cbranch_vccnz .LBB44_15
; %bb.14:
	v_mul_lo_u32 v13, v10, s8
	v_mul_lo_u32 v14, v9, s9
	v_mad_u64_u32 v[11:12], null, v9, s8, 0
	v_add3_u32 v12, v12, v14, v13
.LBB44_15:
	s_cbranch_execz .LBB44_20
; %bb.16:
	s_load_dwordx2 s[6:7], s[4:5], 0x60
	v_cmp_lt_i64_e64 s13, s[0:1], 1
	s_and_b32 vcc_lo, exec_lo, s13
	s_cbranch_vccnz .LBB44_23
.LBB44_17:
	s_clause 0x1
	s_load_dwordx2 s[16:17], s[4:5], 0x48
	s_load_dwordx2 s[4:5], s[4:5], 0x38
	v_lshlrev_b64 v[11:12], 3, v[11:12]
	v_lshlrev_b64 v[9:10], 3, v[7:8]
	s_xor_b32 s10, s11, s10
	v_mov_b32_e32 v8, 0
	s_and_b32 s10, s10, exec_lo
	s_cselect_b32 s11, 0, s3
	s_cselect_b32 s10, 1, s2
	s_xor_b32 s2, s14, s12
	s_and_b32 s2, s2, exec_lo
	s_cselect_b32 s3, s9, 0
	s_cselect_b32 s2, s8, 1
	s_lshl_b64 s[2:3], s[2:3], 3
	s_waitcnt lgkmcnt(0)
	v_add_co_u32 v7, vcc_lo, s16, v11
	v_add_co_ci_u32_e64 v12, null, s17, v12, vcc_lo
	v_add_co_u32 v9, vcc_lo, s4, v9
	v_add_co_ci_u32_e64 v10, null, s5, v10, vcc_lo
	;; [unrolled: 2-line block ×3, first 2 shown]
	v_mov_b32_e32 v7, 0
	s_lshl_b64 s[4:5], s[10:11], 3
	.p2align	6
.LBB44_18:                              ; =>This Inner Loop Header: Depth=1
	global_load_dwordx2 v[13:14], v[9:10], off
	global_load_dwordx2 v[15:16], v[11:12], off offset:-4
	v_add_co_u32 v11, vcc_lo, v11, s2
	v_add_co_ci_u32_e64 v12, null, s3, v12, vcc_lo
	v_add_co_u32 v9, vcc_lo, v9, s4
	s_add_u32 s0, s0, -1
	v_add_co_ci_u32_e64 v10, null, s5, v10, vcc_lo
	s_addc_u32 s1, s1, -1
	s_cmp_eq_u64 s[0:1], 0
	s_waitcnt vmcnt(0)
	v_mul_f32_e64 v17, v16, -v14
	v_mul_f32_e32 v16, v16, v13
	v_fmac_f32_e32 v17, v13, v15
	v_fmac_f32_e32 v16, v14, v15
	v_add_f32_e32 v7, v7, v17
	v_add_f32_e32 v8, v8, v16
	s_cbranch_scc0 .LBB44_18
	s_branch .LBB44_24
.LBB44_19:
                                        ; implicit-def: $vgpr11_vgpr12
.LBB44_20:
	s_andn2_b32 vcc_lo, exec_lo, s14
	s_cbranch_vccnz .LBB44_22
; %bb.21:
	v_mul_lo_u32 v11, v10, s8
	v_mul_lo_u32 v12, v9, s9
	v_mad_u64_u32 v[9:10], null, v9, s8, 0
	v_add3_u32 v10, v10, v12, v11
.LBB44_22:
	v_mov_b32_e32 v12, v10
	v_mov_b32_e32 v11, v9
	s_load_dwordx2 s[6:7], s[4:5], 0x60
	v_cmp_lt_i64_e64 s13, s[0:1], 1
	s_and_b32 vcc_lo, exec_lo, s13
	s_cbranch_vccz .LBB44_17
.LBB44_23:
	v_mov_b32_e32 v8, 0
	v_mov_b32_e32 v7, 0
.LBB44_24:
	s_waitcnt lgkmcnt(0)
	v_add_co_u32 v5, vcc_lo, s6, v5
	v_lshlrev_b32_e32 v0, 3, v0
	v_add_co_ci_u32_e64 v6, null, s7, v6, vcc_lo
	ds_write_b64 v0, v[7:8]
	s_waitcnt lgkmcnt(0)
	s_barrier
	buffer_gl0_inv
	global_load_dwordx2 v[7:8], v[5:6], off
	ds_read_b64 v[9:10], v0
	s_waitcnt lgkmcnt(0)
	v_mul_f32_e64 v0, v10, -v2
	v_mul_f32_e32 v10, v10, v1
	v_fmac_f32_e32 v0, v1, v9
	v_fmac_f32_e32 v10, v2, v9
	s_waitcnt vmcnt(0)
	v_mul_f32_e64 v11, v4, -v8
	v_mul_f32_e32 v4, v4, v7
	v_fmac_f32_e32 v11, v7, v3
	v_fmac_f32_e32 v4, v8, v3
	v_add_f32_e32 v0, v0, v11
	v_add_f32_e32 v1, v10, v4
	global_store_dwordx2 v[5:6], v[0:1], off
.LBB44_25:
	s_endpgm
	.section	.rodata,"a",@progbits
	.p2align	6, 0x0
	.amdhsa_kernel _ZN9rocsparseL17sddmm_coox_kernelILi512ELi1ELb0E21rocsparse_complex_numIfEllS2_S2_S2_EEv20rocsparse_operation_S3_16rocsparse_order_S4_T4_S5_S5_T3_NS_24const_host_device_scalarIT2_EEPKT5_lPKT6_lS9_PT7_PKS6_SJ_21rocsparse_index_base_b
		.amdhsa_group_segment_fixed_size 4096
		.amdhsa_private_segment_fixed_size 0
		.amdhsa_kernarg_size 128
		.amdhsa_user_sgpr_count 6
		.amdhsa_user_sgpr_private_segment_buffer 1
		.amdhsa_user_sgpr_dispatch_ptr 0
		.amdhsa_user_sgpr_queue_ptr 0
		.amdhsa_user_sgpr_kernarg_segment_ptr 1
		.amdhsa_user_sgpr_dispatch_id 0
		.amdhsa_user_sgpr_flat_scratch_init 0
		.amdhsa_user_sgpr_private_segment_size 0
		.amdhsa_wavefront_size32 1
		.amdhsa_uses_dynamic_stack 0
		.amdhsa_system_sgpr_private_segment_wavefront_offset 0
		.amdhsa_system_sgpr_workgroup_id_x 1
		.amdhsa_system_sgpr_workgroup_id_y 0
		.amdhsa_system_sgpr_workgroup_id_z 0
		.amdhsa_system_sgpr_workgroup_info 0
		.amdhsa_system_vgpr_workitem_id 0
		.amdhsa_next_free_vgpr 18
		.amdhsa_next_free_sgpr 18
		.amdhsa_reserve_vcc 1
		.amdhsa_reserve_flat_scratch 0
		.amdhsa_float_round_mode_32 0
		.amdhsa_float_round_mode_16_64 0
		.amdhsa_float_denorm_mode_32 3
		.amdhsa_float_denorm_mode_16_64 3
		.amdhsa_dx10_clamp 1
		.amdhsa_ieee_mode 1
		.amdhsa_fp16_overflow 0
		.amdhsa_workgroup_processor_mode 1
		.amdhsa_memory_ordered 1
		.amdhsa_forward_progress 1
		.amdhsa_shared_vgpr_count 0
		.amdhsa_exception_fp_ieee_invalid_op 0
		.amdhsa_exception_fp_denorm_src 0
		.amdhsa_exception_fp_ieee_div_zero 0
		.amdhsa_exception_fp_ieee_overflow 0
		.amdhsa_exception_fp_ieee_underflow 0
		.amdhsa_exception_fp_ieee_inexact 0
		.amdhsa_exception_int_div_zero 0
	.end_amdhsa_kernel
	.section	.text._ZN9rocsparseL17sddmm_coox_kernelILi512ELi1ELb0E21rocsparse_complex_numIfEllS2_S2_S2_EEv20rocsparse_operation_S3_16rocsparse_order_S4_T4_S5_S5_T3_NS_24const_host_device_scalarIT2_EEPKT5_lPKT6_lS9_PT7_PKS6_SJ_21rocsparse_index_base_b,"axG",@progbits,_ZN9rocsparseL17sddmm_coox_kernelILi512ELi1ELb0E21rocsparse_complex_numIfEllS2_S2_S2_EEv20rocsparse_operation_S3_16rocsparse_order_S4_T4_S5_S5_T3_NS_24const_host_device_scalarIT2_EEPKT5_lPKT6_lS9_PT7_PKS6_SJ_21rocsparse_index_base_b,comdat
.Lfunc_end44:
	.size	_ZN9rocsparseL17sddmm_coox_kernelILi512ELi1ELb0E21rocsparse_complex_numIfEllS2_S2_S2_EEv20rocsparse_operation_S3_16rocsparse_order_S4_T4_S5_S5_T3_NS_24const_host_device_scalarIT2_EEPKT5_lPKT6_lS9_PT7_PKS6_SJ_21rocsparse_index_base_b, .Lfunc_end44-_ZN9rocsparseL17sddmm_coox_kernelILi512ELi1ELb0E21rocsparse_complex_numIfEllS2_S2_S2_EEv20rocsparse_operation_S3_16rocsparse_order_S4_T4_S5_S5_T3_NS_24const_host_device_scalarIT2_EEPKT5_lPKT6_lS9_PT7_PKS6_SJ_21rocsparse_index_base_b
                                        ; -- End function
	.set _ZN9rocsparseL17sddmm_coox_kernelILi512ELi1ELb0E21rocsparse_complex_numIfEllS2_S2_S2_EEv20rocsparse_operation_S3_16rocsparse_order_S4_T4_S5_S5_T3_NS_24const_host_device_scalarIT2_EEPKT5_lPKT6_lS9_PT7_PKS6_SJ_21rocsparse_index_base_b.num_vgpr, 18
	.set _ZN9rocsparseL17sddmm_coox_kernelILi512ELi1ELb0E21rocsparse_complex_numIfEllS2_S2_S2_EEv20rocsparse_operation_S3_16rocsparse_order_S4_T4_S5_S5_T3_NS_24const_host_device_scalarIT2_EEPKT5_lPKT6_lS9_PT7_PKS6_SJ_21rocsparse_index_base_b.num_agpr, 0
	.set _ZN9rocsparseL17sddmm_coox_kernelILi512ELi1ELb0E21rocsparse_complex_numIfEllS2_S2_S2_EEv20rocsparse_operation_S3_16rocsparse_order_S4_T4_S5_S5_T3_NS_24const_host_device_scalarIT2_EEPKT5_lPKT6_lS9_PT7_PKS6_SJ_21rocsparse_index_base_b.numbered_sgpr, 18
	.set _ZN9rocsparseL17sddmm_coox_kernelILi512ELi1ELb0E21rocsparse_complex_numIfEllS2_S2_S2_EEv20rocsparse_operation_S3_16rocsparse_order_S4_T4_S5_S5_T3_NS_24const_host_device_scalarIT2_EEPKT5_lPKT6_lS9_PT7_PKS6_SJ_21rocsparse_index_base_b.num_named_barrier, 0
	.set _ZN9rocsparseL17sddmm_coox_kernelILi512ELi1ELb0E21rocsparse_complex_numIfEllS2_S2_S2_EEv20rocsparse_operation_S3_16rocsparse_order_S4_T4_S5_S5_T3_NS_24const_host_device_scalarIT2_EEPKT5_lPKT6_lS9_PT7_PKS6_SJ_21rocsparse_index_base_b.private_seg_size, 0
	.set _ZN9rocsparseL17sddmm_coox_kernelILi512ELi1ELb0E21rocsparse_complex_numIfEllS2_S2_S2_EEv20rocsparse_operation_S3_16rocsparse_order_S4_T4_S5_S5_T3_NS_24const_host_device_scalarIT2_EEPKT5_lPKT6_lS9_PT7_PKS6_SJ_21rocsparse_index_base_b.uses_vcc, 1
	.set _ZN9rocsparseL17sddmm_coox_kernelILi512ELi1ELb0E21rocsparse_complex_numIfEllS2_S2_S2_EEv20rocsparse_operation_S3_16rocsparse_order_S4_T4_S5_S5_T3_NS_24const_host_device_scalarIT2_EEPKT5_lPKT6_lS9_PT7_PKS6_SJ_21rocsparse_index_base_b.uses_flat_scratch, 0
	.set _ZN9rocsparseL17sddmm_coox_kernelILi512ELi1ELb0E21rocsparse_complex_numIfEllS2_S2_S2_EEv20rocsparse_operation_S3_16rocsparse_order_S4_T4_S5_S5_T3_NS_24const_host_device_scalarIT2_EEPKT5_lPKT6_lS9_PT7_PKS6_SJ_21rocsparse_index_base_b.has_dyn_sized_stack, 0
	.set _ZN9rocsparseL17sddmm_coox_kernelILi512ELi1ELb0E21rocsparse_complex_numIfEllS2_S2_S2_EEv20rocsparse_operation_S3_16rocsparse_order_S4_T4_S5_S5_T3_NS_24const_host_device_scalarIT2_EEPKT5_lPKT6_lS9_PT7_PKS6_SJ_21rocsparse_index_base_b.has_recursion, 0
	.set _ZN9rocsparseL17sddmm_coox_kernelILi512ELi1ELb0E21rocsparse_complex_numIfEllS2_S2_S2_EEv20rocsparse_operation_S3_16rocsparse_order_S4_T4_S5_S5_T3_NS_24const_host_device_scalarIT2_EEPKT5_lPKT6_lS9_PT7_PKS6_SJ_21rocsparse_index_base_b.has_indirect_call, 0
	.section	.AMDGPU.csdata,"",@progbits
; Kernel info:
; codeLenInByte = 1080
; TotalNumSgprs: 20
; NumVgprs: 18
; ScratchSize: 0
; MemoryBound: 0
; FloatMode: 240
; IeeeMode: 1
; LDSByteSize: 4096 bytes/workgroup (compile time only)
; SGPRBlocks: 0
; VGPRBlocks: 2
; NumSGPRsForWavesPerEU: 20
; NumVGPRsForWavesPerEU: 18
; Occupancy: 16
; WaveLimiterHint : 0
; COMPUTE_PGM_RSRC2:SCRATCH_EN: 0
; COMPUTE_PGM_RSRC2:USER_SGPR: 6
; COMPUTE_PGM_RSRC2:TRAP_HANDLER: 0
; COMPUTE_PGM_RSRC2:TGID_X_EN: 1
; COMPUTE_PGM_RSRC2:TGID_Y_EN: 0
; COMPUTE_PGM_RSRC2:TGID_Z_EN: 0
; COMPUTE_PGM_RSRC2:TIDIG_COMP_CNT: 0
	.section	.text._ZN9rocsparseL24sddmm_coox_sample_kernelILi512ELb0E21rocsparse_complex_numIdEllS2_EEvT3_S3_T2_PKT4_S3_PS5_PKS4_SA_21rocsparse_index_base_,"axG",@progbits,_ZN9rocsparseL24sddmm_coox_sample_kernelILi512ELb0E21rocsparse_complex_numIdEllS2_EEvT3_S3_T2_PKT4_S3_PS5_PKS4_SA_21rocsparse_index_base_,comdat
	.globl	_ZN9rocsparseL24sddmm_coox_sample_kernelILi512ELb0E21rocsparse_complex_numIdEllS2_EEvT3_S3_T2_PKT4_S3_PS5_PKS4_SA_21rocsparse_index_base_ ; -- Begin function _ZN9rocsparseL24sddmm_coox_sample_kernelILi512ELb0E21rocsparse_complex_numIdEllS2_EEvT3_S3_T2_PKT4_S3_PS5_PKS4_SA_21rocsparse_index_base_
	.p2align	8
	.type	_ZN9rocsparseL24sddmm_coox_sample_kernelILi512ELb0E21rocsparse_complex_numIdEllS2_EEvT3_S3_T2_PKT4_S3_PS5_PKS4_SA_21rocsparse_index_base_,@function
_ZN9rocsparseL24sddmm_coox_sample_kernelILi512ELb0E21rocsparse_complex_numIdEllS2_EEvT3_S3_T2_PKT4_S3_PS5_PKS4_SA_21rocsparse_index_base_: ; @_ZN9rocsparseL24sddmm_coox_sample_kernelILi512ELb0E21rocsparse_complex_numIdEllS2_EEvT3_S3_T2_PKT4_S3_PS5_PKS4_SA_21rocsparse_index_base_
; %bb.0:
	s_load_dwordx2 s[2:3], s[4:5], 0x10
	v_lshl_or_b32 v0, s6, 9, v0
	v_mov_b32_e32 v1, 0
	s_mov_b32 s0, exec_lo
	s_waitcnt lgkmcnt(0)
	v_cmpx_gt_i64_e64 s[2:3], v[0:1]
	s_cbranch_execz .LBB45_3
; %bb.1:
	s_clause 0x3
	s_load_dword s0, s[4:5], 0x48
	s_load_dwordx2 s[12:13], s[4:5], 0x38
	s_load_dword s1, s[4:5], 0x40
	s_load_dwordx8 s[4:11], s[4:5], 0x18
	v_mov_b32_e32 v3, v1
	v_mov_b32_e32 v2, v0
	s_mov_b32 s15, 0
	s_waitcnt lgkmcnt(0)
	s_lshl_b32 s14, s0, 9
	v_add_nc_u32_e32 v0, s14, v0
.LBB45_2:                               ; =>This Inner Loop Header: Depth=1
	v_lshlrev_b64 v[4:5], 3, v[2:3]
	v_add_co_u32 v6, vcc_lo, s12, v4
	v_add_co_ci_u32_e64 v7, null, s13, v5, vcc_lo
	v_add_co_u32 v4, vcc_lo, s10, v4
	v_add_co_ci_u32_e64 v5, null, s11, v5, vcc_lo
	global_load_dwordx2 v[6:7], v[6:7], off
	global_load_dwordx2 v[4:5], v[4:5], off
	s_waitcnt vmcnt(1)
	v_sub_co_u32 v6, vcc_lo, v6, s1
	v_subrev_co_ci_u32_e64 v7, null, 0, v7, vcc_lo
	s_waitcnt vmcnt(0)
	v_sub_co_u32 v4, vcc_lo, v4, s1
	v_mul_lo_u32 v9, v6, s7
	v_mul_lo_u32 v8, v7, s6
	v_mad_u64_u32 v[6:7], null, v6, s6, 0
	v_subrev_co_ci_u32_e64 v5, null, 0, v5, vcc_lo
	v_lshlrev_b64 v[4:5], 4, v[4:5]
	v_add3_u32 v7, v7, v9, v8
	v_lshlrev_b64 v[8:9], 4, v[2:3]
	v_mov_b32_e32 v3, v1
	v_mov_b32_e32 v2, v0
	v_lshlrev_b64 v[6:7], 4, v[6:7]
	v_add_co_u32 v8, s0, s8, v8
	v_add_co_ci_u32_e64 v9, null, s9, v9, s0
	v_add_co_u32 v6, vcc_lo, s4, v6
	v_add_co_ci_u32_e64 v7, null, s5, v7, vcc_lo
	v_add_co_u32 v4, vcc_lo, v6, v4
	v_add_co_ci_u32_e64 v5, null, v7, v5, vcc_lo
	v_cmp_le_u64_e32 vcc_lo, s[2:3], v[0:1]
	v_add_nc_u32_e32 v0, s14, v0
	global_load_dwordx4 v[4:7], v[4:5], off
	s_or_b32 s15, vcc_lo, s15
	s_waitcnt vmcnt(0)
	global_store_dwordx4 v[8:9], v[4:7], off
	s_andn2_b32 exec_lo, exec_lo, s15
	s_cbranch_execnz .LBB45_2
.LBB45_3:
	s_endpgm
	.section	.rodata,"a",@progbits
	.p2align	6, 0x0
	.amdhsa_kernel _ZN9rocsparseL24sddmm_coox_sample_kernelILi512ELb0E21rocsparse_complex_numIdEllS2_EEvT3_S3_T2_PKT4_S3_PS5_PKS4_SA_21rocsparse_index_base_
		.amdhsa_group_segment_fixed_size 0
		.amdhsa_private_segment_fixed_size 0
		.amdhsa_kernarg_size 328
		.amdhsa_user_sgpr_count 6
		.amdhsa_user_sgpr_private_segment_buffer 1
		.amdhsa_user_sgpr_dispatch_ptr 0
		.amdhsa_user_sgpr_queue_ptr 0
		.amdhsa_user_sgpr_kernarg_segment_ptr 1
		.amdhsa_user_sgpr_dispatch_id 0
		.amdhsa_user_sgpr_flat_scratch_init 0
		.amdhsa_user_sgpr_private_segment_size 0
		.amdhsa_wavefront_size32 1
		.amdhsa_uses_dynamic_stack 0
		.amdhsa_system_sgpr_private_segment_wavefront_offset 0
		.amdhsa_system_sgpr_workgroup_id_x 1
		.amdhsa_system_sgpr_workgroup_id_y 0
		.amdhsa_system_sgpr_workgroup_id_z 0
		.amdhsa_system_sgpr_workgroup_info 0
		.amdhsa_system_vgpr_workitem_id 0
		.amdhsa_next_free_vgpr 10
		.amdhsa_next_free_sgpr 16
		.amdhsa_reserve_vcc 1
		.amdhsa_reserve_flat_scratch 0
		.amdhsa_float_round_mode_32 0
		.amdhsa_float_round_mode_16_64 0
		.amdhsa_float_denorm_mode_32 3
		.amdhsa_float_denorm_mode_16_64 3
		.amdhsa_dx10_clamp 1
		.amdhsa_ieee_mode 1
		.amdhsa_fp16_overflow 0
		.amdhsa_workgroup_processor_mode 1
		.amdhsa_memory_ordered 1
		.amdhsa_forward_progress 1
		.amdhsa_shared_vgpr_count 0
		.amdhsa_exception_fp_ieee_invalid_op 0
		.amdhsa_exception_fp_denorm_src 0
		.amdhsa_exception_fp_ieee_div_zero 0
		.amdhsa_exception_fp_ieee_overflow 0
		.amdhsa_exception_fp_ieee_underflow 0
		.amdhsa_exception_fp_ieee_inexact 0
		.amdhsa_exception_int_div_zero 0
	.end_amdhsa_kernel
	.section	.text._ZN9rocsparseL24sddmm_coox_sample_kernelILi512ELb0E21rocsparse_complex_numIdEllS2_EEvT3_S3_T2_PKT4_S3_PS5_PKS4_SA_21rocsparse_index_base_,"axG",@progbits,_ZN9rocsparseL24sddmm_coox_sample_kernelILi512ELb0E21rocsparse_complex_numIdEllS2_EEvT3_S3_T2_PKT4_S3_PS5_PKS4_SA_21rocsparse_index_base_,comdat
.Lfunc_end45:
	.size	_ZN9rocsparseL24sddmm_coox_sample_kernelILi512ELb0E21rocsparse_complex_numIdEllS2_EEvT3_S3_T2_PKT4_S3_PS5_PKS4_SA_21rocsparse_index_base_, .Lfunc_end45-_ZN9rocsparseL24sddmm_coox_sample_kernelILi512ELb0E21rocsparse_complex_numIdEllS2_EEvT3_S3_T2_PKT4_S3_PS5_PKS4_SA_21rocsparse_index_base_
                                        ; -- End function
	.set _ZN9rocsparseL24sddmm_coox_sample_kernelILi512ELb0E21rocsparse_complex_numIdEllS2_EEvT3_S3_T2_PKT4_S3_PS5_PKS4_SA_21rocsparse_index_base_.num_vgpr, 10
	.set _ZN9rocsparseL24sddmm_coox_sample_kernelILi512ELb0E21rocsparse_complex_numIdEllS2_EEvT3_S3_T2_PKT4_S3_PS5_PKS4_SA_21rocsparse_index_base_.num_agpr, 0
	.set _ZN9rocsparseL24sddmm_coox_sample_kernelILi512ELb0E21rocsparse_complex_numIdEllS2_EEvT3_S3_T2_PKT4_S3_PS5_PKS4_SA_21rocsparse_index_base_.numbered_sgpr, 16
	.set _ZN9rocsparseL24sddmm_coox_sample_kernelILi512ELb0E21rocsparse_complex_numIdEllS2_EEvT3_S3_T2_PKT4_S3_PS5_PKS4_SA_21rocsparse_index_base_.num_named_barrier, 0
	.set _ZN9rocsparseL24sddmm_coox_sample_kernelILi512ELb0E21rocsparse_complex_numIdEllS2_EEvT3_S3_T2_PKT4_S3_PS5_PKS4_SA_21rocsparse_index_base_.private_seg_size, 0
	.set _ZN9rocsparseL24sddmm_coox_sample_kernelILi512ELb0E21rocsparse_complex_numIdEllS2_EEvT3_S3_T2_PKT4_S3_PS5_PKS4_SA_21rocsparse_index_base_.uses_vcc, 1
	.set _ZN9rocsparseL24sddmm_coox_sample_kernelILi512ELb0E21rocsparse_complex_numIdEllS2_EEvT3_S3_T2_PKT4_S3_PS5_PKS4_SA_21rocsparse_index_base_.uses_flat_scratch, 0
	.set _ZN9rocsparseL24sddmm_coox_sample_kernelILi512ELb0E21rocsparse_complex_numIdEllS2_EEvT3_S3_T2_PKT4_S3_PS5_PKS4_SA_21rocsparse_index_base_.has_dyn_sized_stack, 0
	.set _ZN9rocsparseL24sddmm_coox_sample_kernelILi512ELb0E21rocsparse_complex_numIdEllS2_EEvT3_S3_T2_PKT4_S3_PS5_PKS4_SA_21rocsparse_index_base_.has_recursion, 0
	.set _ZN9rocsparseL24sddmm_coox_sample_kernelILi512ELb0E21rocsparse_complex_numIdEllS2_EEvT3_S3_T2_PKT4_S3_PS5_PKS4_SA_21rocsparse_index_base_.has_indirect_call, 0
	.section	.AMDGPU.csdata,"",@progbits
; Kernel info:
; codeLenInByte = 352
; TotalNumSgprs: 18
; NumVgprs: 10
; ScratchSize: 0
; MemoryBound: 0
; FloatMode: 240
; IeeeMode: 1
; LDSByteSize: 0 bytes/workgroup (compile time only)
; SGPRBlocks: 0
; VGPRBlocks: 1
; NumSGPRsForWavesPerEU: 18
; NumVGPRsForWavesPerEU: 10
; Occupancy: 16
; WaveLimiterHint : 0
; COMPUTE_PGM_RSRC2:SCRATCH_EN: 0
; COMPUTE_PGM_RSRC2:USER_SGPR: 6
; COMPUTE_PGM_RSRC2:TRAP_HANDLER: 0
; COMPUTE_PGM_RSRC2:TGID_X_EN: 1
; COMPUTE_PGM_RSRC2:TGID_Y_EN: 0
; COMPUTE_PGM_RSRC2:TGID_Z_EN: 0
; COMPUTE_PGM_RSRC2:TIDIG_COMP_CNT: 0
	.section	.text._ZN9rocsparseL17sddmm_coox_kernelILi512ELi8ELb0E21rocsparse_complex_numIdEllS2_S2_S2_EEv20rocsparse_operation_S3_16rocsparse_order_S4_T4_S5_S5_T3_NS_24const_host_device_scalarIT2_EEPKT5_lPKT6_lS9_PT7_PKS6_SJ_21rocsparse_index_base_b,"axG",@progbits,_ZN9rocsparseL17sddmm_coox_kernelILi512ELi8ELb0E21rocsparse_complex_numIdEllS2_S2_S2_EEv20rocsparse_operation_S3_16rocsparse_order_S4_T4_S5_S5_T3_NS_24const_host_device_scalarIT2_EEPKT5_lPKT6_lS9_PT7_PKS6_SJ_21rocsparse_index_base_b,comdat
	.globl	_ZN9rocsparseL17sddmm_coox_kernelILi512ELi8ELb0E21rocsparse_complex_numIdEllS2_S2_S2_EEv20rocsparse_operation_S3_16rocsparse_order_S4_T4_S5_S5_T3_NS_24const_host_device_scalarIT2_EEPKT5_lPKT6_lS9_PT7_PKS6_SJ_21rocsparse_index_base_b ; -- Begin function _ZN9rocsparseL17sddmm_coox_kernelILi512ELi8ELb0E21rocsparse_complex_numIdEllS2_S2_S2_EEv20rocsparse_operation_S3_16rocsparse_order_S4_T4_S5_S5_T3_NS_24const_host_device_scalarIT2_EEPKT5_lPKT6_lS9_PT7_PKS6_SJ_21rocsparse_index_base_b
	.p2align	8
	.type	_ZN9rocsparseL17sddmm_coox_kernelILi512ELi8ELb0E21rocsparse_complex_numIdEllS2_S2_S2_EEv20rocsparse_operation_S3_16rocsparse_order_S4_T4_S5_S5_T3_NS_24const_host_device_scalarIT2_EEPKT5_lPKT6_lS9_PT7_PKS6_SJ_21rocsparse_index_base_b,@function
_ZN9rocsparseL17sddmm_coox_kernelILi512ELi8ELb0E21rocsparse_complex_numIdEllS2_S2_S2_EEv20rocsparse_operation_S3_16rocsparse_order_S4_T4_S5_S5_T3_NS_24const_host_device_scalarIT2_EEPKT5_lPKT6_lS9_PT7_PKS6_SJ_21rocsparse_index_base_b: ; @_ZN9rocsparseL17sddmm_coox_kernelILi512ELi8ELb0E21rocsparse_complex_numIdEllS2_S2_S2_EEv20rocsparse_operation_S3_16rocsparse_order_S4_T4_S5_S5_T3_NS_24const_host_device_scalarIT2_EEPKT5_lPKT6_lS9_PT7_PKS6_SJ_21rocsparse_index_base_b
; %bb.0:
	s_clause 0x1
	s_load_dwordx2 s[16:17], s[4:5], 0x88
	s_load_dwordx2 s[0:1], s[4:5], 0x30
	s_add_u32 s2, s4, 48
	s_addc_u32 s3, s5, 0
	s_add_u32 s7, s4, 0x60
	s_addc_u32 s8, s5, 0
	s_load_dwordx4 s[12:15], s[4:5], 0x58
	s_waitcnt lgkmcnt(0)
	s_bitcmp1_b32 s17, 0
	s_cselect_b32 s0, s2, s0
	s_cselect_b32 s1, s3, s1
	v_mov_b32_e32 v1, s0
	v_mov_b32_e32 v2, s1
	s_cselect_b32 s0, s7, s14
	s_cselect_b32 s1, s8, s15
	v_mov_b32_e32 v5, s0
	v_mov_b32_e32 v6, s1
	flat_load_dwordx4 v[1:4], v[1:2]
	flat_load_dwordx4 v[5:8], v[5:6]
	s_waitcnt vmcnt(1) lgkmcnt(1)
	v_cmp_eq_f64_e32 vcc_lo, 0, v[1:2]
	v_cmp_eq_f64_e64 s0, 0, v[3:4]
	s_and_b32 s2, vcc_lo, s0
	s_mov_b32 s0, -1
	s_and_saveexec_b32 s1, s2
	s_cbranch_execz .LBB46_2
; %bb.1:
	s_waitcnt vmcnt(0) lgkmcnt(0)
	v_cmp_neq_f64_e32 vcc_lo, 1.0, v[5:6]
	v_cmp_neq_f64_e64 s0, 0, v[7:8]
	s_or_b32 s0, vcc_lo, s0
	s_orn2_b32 s0, s0, exec_lo
.LBB46_2:
	s_or_b32 exec_lo, exec_lo, s1
	s_and_saveexec_b32 s1, s0
	s_cbranch_execz .LBB46_32
; %bb.3:
	s_load_dwordx4 s[8:11], s[4:5], 0x20
	v_lshrrev_b32_e32 v23, 3, v0
	v_mov_b32_e32 v14, 0
	v_lshl_or_b32 v13, s6, 6, v23
	s_waitcnt lgkmcnt(0)
	v_cmp_gt_i64_e32 vcc_lo, s[10:11], v[13:14]
	s_and_b32 exec_lo, exec_lo, vcc_lo
	s_cbranch_execz .LBB46_32
; %bb.4:
	s_load_dwordx4 s[0:3], s[4:5], 0x78
	v_lshlrev_b64 v[9:10], 3, v[13:14]
	s_waitcnt lgkmcnt(0)
	v_add_co_u32 v11, vcc_lo, s0, v9
	v_add_co_ci_u32_e64 v12, null, s1, v10, vcc_lo
	v_add_co_u32 v9, vcc_lo, s2, v9
	v_add_co_ci_u32_e64 v10, null, s3, v10, vcc_lo
	global_load_dwordx2 v[11:12], v[11:12], off
	global_load_dwordx2 v[9:10], v[9:10], off
	s_clause 0x1
	s_load_dwordx4 s[0:3], s[4:5], 0x0
	s_load_dwordx2 s[6:7], s[4:5], 0x48
	s_waitcnt lgkmcnt(0)
	s_cmp_eq_u32 s2, 1
	s_cselect_b32 s10, -1, 0
	s_cmpk_eq_i32 s0, 0x6f
	s_cselect_b32 s11, -1, 0
	s_cmpk_lg_i32 s0, 0x6f
	s_cselect_b32 s0, -1, 0
	s_cmp_lg_u32 s2, 1
	s_waitcnt vmcnt(1)
	v_sub_co_u32 v11, vcc_lo, v11, s16
	v_subrev_co_ci_u32_e64 v12, null, 0, v12, vcc_lo
	s_cbranch_scc0 .LBB46_8
; %bb.5:
	v_mov_b32_e32 v18, v12
	v_mov_b32_e32 v17, v11
	s_andn2_b32 vcc_lo, exec_lo, s11
	s_cbranch_vccnz .LBB46_7
; %bb.6:
	v_mul_lo_u32 v15, v12, s6
	v_mul_lo_u32 v16, v11, s7
	v_mad_u64_u32 v[17:18], null, v11, s6, 0
	v_add3_u32 v18, v18, v16, v15
.LBB46_7:
	s_cbranch_execz .LBB46_9
	s_branch .LBB46_12
.LBB46_8:
                                        ; implicit-def: $vgpr17_vgpr18
.LBB46_9:
	s_andn2_b32 vcc_lo, exec_lo, s0
	s_cbranch_vccnz .LBB46_11
; %bb.10:
	v_mul_lo_u32 v15, v12, s6
	v_mul_lo_u32 v16, v11, s7
	v_mad_u64_u32 v[11:12], null, v11, s6, 0
	v_add3_u32 v12, v12, v16, v15
.LBB46_11:
	v_mov_b32_e32 v18, v12
	v_mov_b32_e32 v17, v11
.LBB46_12:
	s_cmp_eq_u32 s3, 1
	s_waitcnt vmcnt(0)
	v_sub_co_u32 v9, vcc_lo, v9, s16
	s_cselect_b32 s0, -1, 0
	s_cmpk_eq_i32 s1, 0x6f
	v_subrev_co_ci_u32_e64 v10, null, 0, v10, vcc_lo
	s_cselect_b32 s14, -1, 0
	s_cmpk_lg_i32 s1, 0x6f
	s_cselect_b32 s1, -1, 0
	s_cmp_lg_u32 s3, 1
	s_cbranch_scc0 .LBB46_16
; %bb.13:
	v_mov_b32_e32 v20, v10
	v_mov_b32_e32 v19, v9
	s_andn2_b32 vcc_lo, exec_lo, s1
	s_cbranch_vccnz .LBB46_15
; %bb.14:
	v_mul_lo_u32 v11, v10, s12
	v_mul_lo_u32 v12, v9, s13
	v_mad_u64_u32 v[19:20], null, v9, s12, 0
	v_add3_u32 v20, v20, v12, v11
.LBB46_15:
	s_cbranch_execz .LBB46_17
	s_branch .LBB46_20
.LBB46_16:
                                        ; implicit-def: $vgpr19_vgpr20
.LBB46_17:
	s_andn2_b32 vcc_lo, exec_lo, s14
	s_cbranch_vccnz .LBB46_19
; %bb.18:
	v_mul_lo_u32 v11, v10, s12
	v_mul_lo_u32 v12, v9, s13
	v_mad_u64_u32 v[9:10], null, v9, s12, 0
	v_add3_u32 v10, v10, v12, v11
.LBB46_19:
	v_mov_b32_e32 v20, v10
	v_mov_b32_e32 v19, v9
.LBB46_20:
	s_load_dwordx2 s[2:3], s[4:5], 0x70
	v_mov_b32_e32 v11, 0
	v_mov_b32_e32 v9, 0
	v_and_b32_e32 v15, 7, v0
	v_mov_b32_e32 v16, 0
	v_mov_b32_e32 v12, 0
	;; [unrolled: 1-line block ×3, first 2 shown]
	s_mov_b32 s1, exec_lo
	v_cmpx_gt_i64_e64 s[8:9], v[15:16]
	s_cbranch_execz .LBB46_24
; %bb.21:
	s_xor_b32 s10, s11, s10
	v_lshlrev_b64 v[17:18], 4, v[17:18]
	s_and_b32 s10, s10, exec_lo
	s_cselect_b32 s6, 1, s6
	s_cselect_b32 s7, 0, s7
	v_mad_u64_u32 v[9:10], null, s6, v15, 0
	s_xor_b32 s0, s14, s0
	s_load_dwordx2 s[10:11], s[4:5], 0x40
	s_and_b32 s0, s0, exec_lo
	s_cselect_b32 s12, s12, 1
	s_cselect_b32 s13, s13, 0
	v_mad_u64_u32 v[21:22], null, s12, v15, 0
	v_mov_b32_e32 v0, v10
	s_load_dwordx2 s[4:5], s[4:5], 0x50
	v_lshlrev_b64 v[19:20], 4, v[19:20]
	v_mad_u64_u32 v[11:12], null, s7, v15, v[0:1]
	v_mov_b32_e32 v10, v22
	v_mad_u64_u32 v[24:25], null, s13, v15, v[10:11]
	v_mov_b32_e32 v10, v11
	v_mov_b32_e32 v11, 0
	;; [unrolled: 1-line block ×3, first 2 shown]
	v_lshlrev_b64 v[9:10], 4, v[9:10]
	v_mov_b32_e32 v22, v24
	v_add_co_u32 v0, vcc_lo, v9, v17
	v_lshlrev_b64 v[21:22], 4, v[21:22]
	v_add_co_ci_u32_e64 v9, null, v10, v18, vcc_lo
	v_add_co_u32 v10, vcc_lo, v21, v19
	v_add_co_ci_u32_e64 v17, null, v22, v20, vcc_lo
	s_waitcnt lgkmcnt(0)
	v_add_co_u32 v0, vcc_lo, s10, v0
	v_add_co_ci_u32_e64 v9, null, s11, v9, vcc_lo
	v_add_co_u32 v10, vcc_lo, s4, v10
	v_add_co_ci_u32_e64 v20, null, s5, v17, vcc_lo
	;; [unrolled: 2-line block ×3, first 2 shown]
	v_add_co_u32 v19, vcc_lo, v10, 8
	v_mov_b32_e32 v22, v16
	v_mov_b32_e32 v9, v11
	v_add_co_ci_u32_e64 v20, null, 0, v20, vcc_lo
	v_mov_b32_e32 v21, v15
	v_mov_b32_e32 v10, v12
	s_mov_b32 s10, 0
	s_lshl_b64 s[4:5], s[6:7], 7
	s_lshl_b64 s[6:7], s[12:13], 7
	.p2align	6
.LBB46_22:                              ; =>This Inner Loop Header: Depth=1
	global_load_dwordx4 v[24:27], v[19:20], off offset:-8
	global_load_dwordx4 v[28:31], v[17:18], off offset:-8
	v_add_co_u32 v21, vcc_lo, v21, 8
	v_add_co_ci_u32_e64 v22, null, 0, v22, vcc_lo
	v_add_co_u32 v17, vcc_lo, v17, s4
	v_add_co_ci_u32_e64 v18, null, s5, v18, vcc_lo
	v_cmp_le_i64_e32 vcc_lo, s[8:9], v[21:22]
	v_add_co_u32 v19, s0, v19, s6
	v_add_co_ci_u32_e64 v20, null, s7, v20, s0
	s_or_b32 s10, vcc_lo, s10
	s_waitcnt vmcnt(0)
	v_mul_f64 v[32:33], v[26:27], -v[30:31]
	v_mul_f64 v[26:27], v[26:27], v[28:29]
	v_fma_f64 v[28:29], v[28:29], v[24:25], v[32:33]
	v_fma_f64 v[24:25], v[30:31], v[24:25], v[26:27]
	v_add_f64 v[9:10], v[9:10], v[28:29]
	v_add_f64 v[11:12], v[11:12], v[24:25]
	s_andn2_b32 exec_lo, exec_lo, s10
	s_cbranch_execnz .LBB46_22
; %bb.23:
	s_or_b32 exec_lo, exec_lo, s10
.LBB46_24:
	s_or_b32 exec_lo, exec_lo, s1
	v_lshlrev_b32_e32 v0, 7, v23
	s_mov_b32 s0, exec_lo
	v_lshl_or_b32 v16, v15, 4, v0
	ds_write_b128 v16, v[9:12]
	s_waitcnt lgkmcnt(0)
	s_barrier
	buffer_gl0_inv
	v_cmpx_gt_u32_e32 4, v15
	s_cbranch_execz .LBB46_26
; %bb.25:
	ds_read_b128 v[9:12], v16 offset:64
	ds_read_b128 v[17:20], v16
	s_waitcnt lgkmcnt(0)
	v_add_f64 v[9:10], v[9:10], v[17:18]
	v_add_f64 v[11:12], v[11:12], v[19:20]
	ds_write_b128 v16, v[9:12]
.LBB46_26:
	s_or_b32 exec_lo, exec_lo, s0
	s_mov_b32 s0, exec_lo
	s_waitcnt lgkmcnt(0)
	s_barrier
	buffer_gl0_inv
	v_cmpx_gt_u32_e32 2, v15
	s_cbranch_execz .LBB46_28
; %bb.27:
	ds_read_b128 v[9:12], v16
	ds_read_b128 v[17:20], v16 offset:32
	s_waitcnt lgkmcnt(0)
	v_add_f64 v[9:10], v[17:18], v[9:10]
	v_add_f64 v[11:12], v[19:20], v[11:12]
	ds_write_b128 v16, v[9:12]
.LBB46_28:
	s_or_b32 exec_lo, exec_lo, s0
	v_cmp_eq_u32_e32 vcc_lo, 0, v15
	s_waitcnt lgkmcnt(0)
	s_barrier
	buffer_gl0_inv
	s_and_saveexec_b32 s0, vcc_lo
	s_cbranch_execz .LBB46_30
; %bb.29:
	ds_read_b128 v[9:12], v16
	ds_read_b128 v[17:20], v16 offset:16
	s_waitcnt lgkmcnt(0)
	v_add_f64 v[9:10], v[17:18], v[9:10]
	v_add_f64 v[11:12], v[19:20], v[11:12]
	ds_write_b128 v16, v[9:12]
.LBB46_30:
	s_or_b32 exec_lo, exec_lo, s0
	s_waitcnt lgkmcnt(0)
	s_barrier
	buffer_gl0_inv
	s_and_b32 exec_lo, exec_lo, vcc_lo
	s_cbranch_execz .LBB46_32
; %bb.31:
	v_lshlrev_b64 v[9:10], 4, v[13:14]
	ds_read_b128 v[13:16], v0
	v_add_co_u32 v17, vcc_lo, s2, v9
	v_add_co_ci_u32_e64 v18, null, s3, v10, vcc_lo
	global_load_dwordx4 v[9:12], v[17:18], off
	s_waitcnt lgkmcnt(0)
	v_mul_f64 v[19:20], v[15:16], -v[3:4]
	v_mul_f64 v[15:16], v[1:2], v[15:16]
	v_fma_f64 v[0:1], v[1:2], v[13:14], v[19:20]
	v_fma_f64 v[2:3], v[3:4], v[13:14], v[15:16]
	s_waitcnt vmcnt(0)
	v_mul_f64 v[21:22], v[7:8], -v[11:12]
	v_mul_f64 v[7:8], v[7:8], v[9:10]
	v_fma_f64 v[9:10], v[9:10], v[5:6], v[21:22]
	v_fma_f64 v[4:5], v[11:12], v[5:6], v[7:8]
	v_add_f64 v[0:1], v[9:10], v[0:1]
	v_add_f64 v[2:3], v[4:5], v[2:3]
	global_store_dwordx4 v[17:18], v[0:3], off
.LBB46_32:
	s_endpgm
	.section	.rodata,"a",@progbits
	.p2align	6, 0x0
	.amdhsa_kernel _ZN9rocsparseL17sddmm_coox_kernelILi512ELi8ELb0E21rocsparse_complex_numIdEllS2_S2_S2_EEv20rocsparse_operation_S3_16rocsparse_order_S4_T4_S5_S5_T3_NS_24const_host_device_scalarIT2_EEPKT5_lPKT6_lS9_PT7_PKS6_SJ_21rocsparse_index_base_b
		.amdhsa_group_segment_fixed_size 8192
		.amdhsa_private_segment_fixed_size 0
		.amdhsa_kernarg_size 144
		.amdhsa_user_sgpr_count 6
		.amdhsa_user_sgpr_private_segment_buffer 1
		.amdhsa_user_sgpr_dispatch_ptr 0
		.amdhsa_user_sgpr_queue_ptr 0
		.amdhsa_user_sgpr_kernarg_segment_ptr 1
		.amdhsa_user_sgpr_dispatch_id 0
		.amdhsa_user_sgpr_flat_scratch_init 0
		.amdhsa_user_sgpr_private_segment_size 0
		.amdhsa_wavefront_size32 1
		.amdhsa_uses_dynamic_stack 0
		.amdhsa_system_sgpr_private_segment_wavefront_offset 0
		.amdhsa_system_sgpr_workgroup_id_x 1
		.amdhsa_system_sgpr_workgroup_id_y 0
		.amdhsa_system_sgpr_workgroup_id_z 0
		.amdhsa_system_sgpr_workgroup_info 0
		.amdhsa_system_vgpr_workitem_id 0
		.amdhsa_next_free_vgpr 34
		.amdhsa_next_free_sgpr 18
		.amdhsa_reserve_vcc 1
		.amdhsa_reserve_flat_scratch 0
		.amdhsa_float_round_mode_32 0
		.amdhsa_float_round_mode_16_64 0
		.amdhsa_float_denorm_mode_32 3
		.amdhsa_float_denorm_mode_16_64 3
		.amdhsa_dx10_clamp 1
		.amdhsa_ieee_mode 1
		.amdhsa_fp16_overflow 0
		.amdhsa_workgroup_processor_mode 1
		.amdhsa_memory_ordered 1
		.amdhsa_forward_progress 1
		.amdhsa_shared_vgpr_count 0
		.amdhsa_exception_fp_ieee_invalid_op 0
		.amdhsa_exception_fp_denorm_src 0
		.amdhsa_exception_fp_ieee_div_zero 0
		.amdhsa_exception_fp_ieee_overflow 0
		.amdhsa_exception_fp_ieee_underflow 0
		.amdhsa_exception_fp_ieee_inexact 0
		.amdhsa_exception_int_div_zero 0
	.end_amdhsa_kernel
	.section	.text._ZN9rocsparseL17sddmm_coox_kernelILi512ELi8ELb0E21rocsparse_complex_numIdEllS2_S2_S2_EEv20rocsparse_operation_S3_16rocsparse_order_S4_T4_S5_S5_T3_NS_24const_host_device_scalarIT2_EEPKT5_lPKT6_lS9_PT7_PKS6_SJ_21rocsparse_index_base_b,"axG",@progbits,_ZN9rocsparseL17sddmm_coox_kernelILi512ELi8ELb0E21rocsparse_complex_numIdEllS2_S2_S2_EEv20rocsparse_operation_S3_16rocsparse_order_S4_T4_S5_S5_T3_NS_24const_host_device_scalarIT2_EEPKT5_lPKT6_lS9_PT7_PKS6_SJ_21rocsparse_index_base_b,comdat
.Lfunc_end46:
	.size	_ZN9rocsparseL17sddmm_coox_kernelILi512ELi8ELb0E21rocsparse_complex_numIdEllS2_S2_S2_EEv20rocsparse_operation_S3_16rocsparse_order_S4_T4_S5_S5_T3_NS_24const_host_device_scalarIT2_EEPKT5_lPKT6_lS9_PT7_PKS6_SJ_21rocsparse_index_base_b, .Lfunc_end46-_ZN9rocsparseL17sddmm_coox_kernelILi512ELi8ELb0E21rocsparse_complex_numIdEllS2_S2_S2_EEv20rocsparse_operation_S3_16rocsparse_order_S4_T4_S5_S5_T3_NS_24const_host_device_scalarIT2_EEPKT5_lPKT6_lS9_PT7_PKS6_SJ_21rocsparse_index_base_b
                                        ; -- End function
	.set _ZN9rocsparseL17sddmm_coox_kernelILi512ELi8ELb0E21rocsparse_complex_numIdEllS2_S2_S2_EEv20rocsparse_operation_S3_16rocsparse_order_S4_T4_S5_S5_T3_NS_24const_host_device_scalarIT2_EEPKT5_lPKT6_lS9_PT7_PKS6_SJ_21rocsparse_index_base_b.num_vgpr, 34
	.set _ZN9rocsparseL17sddmm_coox_kernelILi512ELi8ELb0E21rocsparse_complex_numIdEllS2_S2_S2_EEv20rocsparse_operation_S3_16rocsparse_order_S4_T4_S5_S5_T3_NS_24const_host_device_scalarIT2_EEPKT5_lPKT6_lS9_PT7_PKS6_SJ_21rocsparse_index_base_b.num_agpr, 0
	.set _ZN9rocsparseL17sddmm_coox_kernelILi512ELi8ELb0E21rocsparse_complex_numIdEllS2_S2_S2_EEv20rocsparse_operation_S3_16rocsparse_order_S4_T4_S5_S5_T3_NS_24const_host_device_scalarIT2_EEPKT5_lPKT6_lS9_PT7_PKS6_SJ_21rocsparse_index_base_b.numbered_sgpr, 18
	.set _ZN9rocsparseL17sddmm_coox_kernelILi512ELi8ELb0E21rocsparse_complex_numIdEllS2_S2_S2_EEv20rocsparse_operation_S3_16rocsparse_order_S4_T4_S5_S5_T3_NS_24const_host_device_scalarIT2_EEPKT5_lPKT6_lS9_PT7_PKS6_SJ_21rocsparse_index_base_b.num_named_barrier, 0
	.set _ZN9rocsparseL17sddmm_coox_kernelILi512ELi8ELb0E21rocsparse_complex_numIdEllS2_S2_S2_EEv20rocsparse_operation_S3_16rocsparse_order_S4_T4_S5_S5_T3_NS_24const_host_device_scalarIT2_EEPKT5_lPKT6_lS9_PT7_PKS6_SJ_21rocsparse_index_base_b.private_seg_size, 0
	.set _ZN9rocsparseL17sddmm_coox_kernelILi512ELi8ELb0E21rocsparse_complex_numIdEllS2_S2_S2_EEv20rocsparse_operation_S3_16rocsparse_order_S4_T4_S5_S5_T3_NS_24const_host_device_scalarIT2_EEPKT5_lPKT6_lS9_PT7_PKS6_SJ_21rocsparse_index_base_b.uses_vcc, 1
	.set _ZN9rocsparseL17sddmm_coox_kernelILi512ELi8ELb0E21rocsparse_complex_numIdEllS2_S2_S2_EEv20rocsparse_operation_S3_16rocsparse_order_S4_T4_S5_S5_T3_NS_24const_host_device_scalarIT2_EEPKT5_lPKT6_lS9_PT7_PKS6_SJ_21rocsparse_index_base_b.uses_flat_scratch, 0
	.set _ZN9rocsparseL17sddmm_coox_kernelILi512ELi8ELb0E21rocsparse_complex_numIdEllS2_S2_S2_EEv20rocsparse_operation_S3_16rocsparse_order_S4_T4_S5_S5_T3_NS_24const_host_device_scalarIT2_EEPKT5_lPKT6_lS9_PT7_PKS6_SJ_21rocsparse_index_base_b.has_dyn_sized_stack, 0
	.set _ZN9rocsparseL17sddmm_coox_kernelILi512ELi8ELb0E21rocsparse_complex_numIdEllS2_S2_S2_EEv20rocsparse_operation_S3_16rocsparse_order_S4_T4_S5_S5_T3_NS_24const_host_device_scalarIT2_EEPKT5_lPKT6_lS9_PT7_PKS6_SJ_21rocsparse_index_base_b.has_recursion, 0
	.set _ZN9rocsparseL17sddmm_coox_kernelILi512ELi8ELb0E21rocsparse_complex_numIdEllS2_S2_S2_EEv20rocsparse_operation_S3_16rocsparse_order_S4_T4_S5_S5_T3_NS_24const_host_device_scalarIT2_EEPKT5_lPKT6_lS9_PT7_PKS6_SJ_21rocsparse_index_base_b.has_indirect_call, 0
	.section	.AMDGPU.csdata,"",@progbits
; Kernel info:
; codeLenInByte = 1512
; TotalNumSgprs: 20
; NumVgprs: 34
; ScratchSize: 0
; MemoryBound: 0
; FloatMode: 240
; IeeeMode: 1
; LDSByteSize: 8192 bytes/workgroup (compile time only)
; SGPRBlocks: 0
; VGPRBlocks: 4
; NumSGPRsForWavesPerEU: 20
; NumVGPRsForWavesPerEU: 34
; Occupancy: 16
; WaveLimiterHint : 1
; COMPUTE_PGM_RSRC2:SCRATCH_EN: 0
; COMPUTE_PGM_RSRC2:USER_SGPR: 6
; COMPUTE_PGM_RSRC2:TRAP_HANDLER: 0
; COMPUTE_PGM_RSRC2:TGID_X_EN: 1
; COMPUTE_PGM_RSRC2:TGID_Y_EN: 0
; COMPUTE_PGM_RSRC2:TGID_Z_EN: 0
; COMPUTE_PGM_RSRC2:TIDIG_COMP_CNT: 0
	.section	.text._ZN9rocsparseL17sddmm_coox_kernelILi512ELi4ELb0E21rocsparse_complex_numIdEllS2_S2_S2_EEv20rocsparse_operation_S3_16rocsparse_order_S4_T4_S5_S5_T3_NS_24const_host_device_scalarIT2_EEPKT5_lPKT6_lS9_PT7_PKS6_SJ_21rocsparse_index_base_b,"axG",@progbits,_ZN9rocsparseL17sddmm_coox_kernelILi512ELi4ELb0E21rocsparse_complex_numIdEllS2_S2_S2_EEv20rocsparse_operation_S3_16rocsparse_order_S4_T4_S5_S5_T3_NS_24const_host_device_scalarIT2_EEPKT5_lPKT6_lS9_PT7_PKS6_SJ_21rocsparse_index_base_b,comdat
	.globl	_ZN9rocsparseL17sddmm_coox_kernelILi512ELi4ELb0E21rocsparse_complex_numIdEllS2_S2_S2_EEv20rocsparse_operation_S3_16rocsparse_order_S4_T4_S5_S5_T3_NS_24const_host_device_scalarIT2_EEPKT5_lPKT6_lS9_PT7_PKS6_SJ_21rocsparse_index_base_b ; -- Begin function _ZN9rocsparseL17sddmm_coox_kernelILi512ELi4ELb0E21rocsparse_complex_numIdEllS2_S2_S2_EEv20rocsparse_operation_S3_16rocsparse_order_S4_T4_S5_S5_T3_NS_24const_host_device_scalarIT2_EEPKT5_lPKT6_lS9_PT7_PKS6_SJ_21rocsparse_index_base_b
	.p2align	8
	.type	_ZN9rocsparseL17sddmm_coox_kernelILi512ELi4ELb0E21rocsparse_complex_numIdEllS2_S2_S2_EEv20rocsparse_operation_S3_16rocsparse_order_S4_T4_S5_S5_T3_NS_24const_host_device_scalarIT2_EEPKT5_lPKT6_lS9_PT7_PKS6_SJ_21rocsparse_index_base_b,@function
_ZN9rocsparseL17sddmm_coox_kernelILi512ELi4ELb0E21rocsparse_complex_numIdEllS2_S2_S2_EEv20rocsparse_operation_S3_16rocsparse_order_S4_T4_S5_S5_T3_NS_24const_host_device_scalarIT2_EEPKT5_lPKT6_lS9_PT7_PKS6_SJ_21rocsparse_index_base_b: ; @_ZN9rocsparseL17sddmm_coox_kernelILi512ELi4ELb0E21rocsparse_complex_numIdEllS2_S2_S2_EEv20rocsparse_operation_S3_16rocsparse_order_S4_T4_S5_S5_T3_NS_24const_host_device_scalarIT2_EEPKT5_lPKT6_lS9_PT7_PKS6_SJ_21rocsparse_index_base_b
; %bb.0:
	s_clause 0x1
	s_load_dwordx2 s[16:17], s[4:5], 0x88
	s_load_dwordx2 s[0:1], s[4:5], 0x30
	s_add_u32 s2, s4, 48
	s_addc_u32 s3, s5, 0
	s_add_u32 s7, s4, 0x60
	s_addc_u32 s8, s5, 0
	s_load_dwordx4 s[12:15], s[4:5], 0x58
	s_waitcnt lgkmcnt(0)
	s_bitcmp1_b32 s17, 0
	s_cselect_b32 s0, s2, s0
	s_cselect_b32 s1, s3, s1
	v_mov_b32_e32 v1, s0
	v_mov_b32_e32 v2, s1
	s_cselect_b32 s0, s7, s14
	s_cselect_b32 s1, s8, s15
	v_mov_b32_e32 v5, s0
	v_mov_b32_e32 v6, s1
	flat_load_dwordx4 v[1:4], v[1:2]
	flat_load_dwordx4 v[5:8], v[5:6]
	s_waitcnt vmcnt(1) lgkmcnt(1)
	v_cmp_eq_f64_e32 vcc_lo, 0, v[1:2]
	v_cmp_eq_f64_e64 s0, 0, v[3:4]
	s_and_b32 s2, vcc_lo, s0
	s_mov_b32 s0, -1
	s_and_saveexec_b32 s1, s2
	s_cbranch_execz .LBB47_2
; %bb.1:
	s_waitcnt vmcnt(0) lgkmcnt(0)
	v_cmp_neq_f64_e32 vcc_lo, 1.0, v[5:6]
	v_cmp_neq_f64_e64 s0, 0, v[7:8]
	s_or_b32 s0, vcc_lo, s0
	s_orn2_b32 s0, s0, exec_lo
.LBB47_2:
	s_or_b32 exec_lo, exec_lo, s1
	s_and_saveexec_b32 s1, s0
	s_cbranch_execz .LBB47_30
; %bb.3:
	s_load_dwordx4 s[8:11], s[4:5], 0x20
	v_lshrrev_b32_e32 v23, 2, v0
	v_mov_b32_e32 v14, 0
	v_lshl_or_b32 v13, s6, 7, v23
	s_waitcnt lgkmcnt(0)
	v_cmp_gt_i64_e32 vcc_lo, s[10:11], v[13:14]
	s_and_b32 exec_lo, exec_lo, vcc_lo
	s_cbranch_execz .LBB47_30
; %bb.4:
	s_load_dwordx4 s[0:3], s[4:5], 0x78
	v_lshlrev_b64 v[9:10], 3, v[13:14]
	s_waitcnt lgkmcnt(0)
	v_add_co_u32 v11, vcc_lo, s0, v9
	v_add_co_ci_u32_e64 v12, null, s1, v10, vcc_lo
	v_add_co_u32 v9, vcc_lo, s2, v9
	v_add_co_ci_u32_e64 v10, null, s3, v10, vcc_lo
	global_load_dwordx2 v[11:12], v[11:12], off
	global_load_dwordx2 v[9:10], v[9:10], off
	s_clause 0x1
	s_load_dwordx4 s[0:3], s[4:5], 0x0
	s_load_dwordx2 s[6:7], s[4:5], 0x48
	s_waitcnt lgkmcnt(0)
	s_cmp_eq_u32 s2, 1
	s_cselect_b32 s10, -1, 0
	s_cmpk_eq_i32 s0, 0x6f
	s_cselect_b32 s11, -1, 0
	s_cmpk_lg_i32 s0, 0x6f
	s_cselect_b32 s0, -1, 0
	s_cmp_lg_u32 s2, 1
	s_waitcnt vmcnt(1)
	v_sub_co_u32 v11, vcc_lo, v11, s16
	v_subrev_co_ci_u32_e64 v12, null, 0, v12, vcc_lo
	s_cbranch_scc0 .LBB47_8
; %bb.5:
	v_mov_b32_e32 v18, v12
	v_mov_b32_e32 v17, v11
	s_andn2_b32 vcc_lo, exec_lo, s11
	s_cbranch_vccnz .LBB47_7
; %bb.6:
	v_mul_lo_u32 v15, v12, s6
	v_mul_lo_u32 v16, v11, s7
	v_mad_u64_u32 v[17:18], null, v11, s6, 0
	v_add3_u32 v18, v18, v16, v15
.LBB47_7:
	s_cbranch_execz .LBB47_9
	s_branch .LBB47_12
.LBB47_8:
                                        ; implicit-def: $vgpr17_vgpr18
.LBB47_9:
	s_andn2_b32 vcc_lo, exec_lo, s0
	s_cbranch_vccnz .LBB47_11
; %bb.10:
	v_mul_lo_u32 v15, v12, s6
	v_mul_lo_u32 v16, v11, s7
	v_mad_u64_u32 v[11:12], null, v11, s6, 0
	v_add3_u32 v12, v12, v16, v15
.LBB47_11:
	v_mov_b32_e32 v18, v12
	v_mov_b32_e32 v17, v11
.LBB47_12:
	s_cmp_eq_u32 s3, 1
	s_waitcnt vmcnt(0)
	v_sub_co_u32 v9, vcc_lo, v9, s16
	s_cselect_b32 s0, -1, 0
	s_cmpk_eq_i32 s1, 0x6f
	v_subrev_co_ci_u32_e64 v10, null, 0, v10, vcc_lo
	s_cselect_b32 s14, -1, 0
	s_cmpk_lg_i32 s1, 0x6f
	s_cselect_b32 s1, -1, 0
	s_cmp_lg_u32 s3, 1
	s_cbranch_scc0 .LBB47_16
; %bb.13:
	v_mov_b32_e32 v20, v10
	v_mov_b32_e32 v19, v9
	s_andn2_b32 vcc_lo, exec_lo, s1
	s_cbranch_vccnz .LBB47_15
; %bb.14:
	v_mul_lo_u32 v11, v10, s12
	v_mul_lo_u32 v12, v9, s13
	v_mad_u64_u32 v[19:20], null, v9, s12, 0
	v_add3_u32 v20, v20, v12, v11
.LBB47_15:
	s_cbranch_execz .LBB47_17
	s_branch .LBB47_20
.LBB47_16:
                                        ; implicit-def: $vgpr19_vgpr20
.LBB47_17:
	s_andn2_b32 vcc_lo, exec_lo, s14
	s_cbranch_vccnz .LBB47_19
; %bb.18:
	v_mul_lo_u32 v11, v10, s12
	v_mul_lo_u32 v12, v9, s13
	v_mad_u64_u32 v[9:10], null, v9, s12, 0
	v_add3_u32 v10, v10, v12, v11
.LBB47_19:
	v_mov_b32_e32 v20, v10
	v_mov_b32_e32 v19, v9
.LBB47_20:
	s_load_dwordx2 s[2:3], s[4:5], 0x70
	v_mov_b32_e32 v11, 0
	v_mov_b32_e32 v9, 0
	v_and_b32_e32 v15, 3, v0
	v_mov_b32_e32 v16, 0
	v_mov_b32_e32 v12, 0
	;; [unrolled: 1-line block ×3, first 2 shown]
	s_mov_b32 s1, exec_lo
	v_cmpx_gt_i64_e64 s[8:9], v[15:16]
	s_cbranch_execz .LBB47_24
; %bb.21:
	s_xor_b32 s10, s11, s10
	v_lshlrev_b64 v[17:18], 4, v[17:18]
	s_and_b32 s10, s10, exec_lo
	s_cselect_b32 s6, 1, s6
	s_cselect_b32 s7, 0, s7
	v_mad_u64_u32 v[9:10], null, s6, v15, 0
	s_xor_b32 s0, s14, s0
	s_load_dwordx2 s[10:11], s[4:5], 0x40
	s_and_b32 s0, s0, exec_lo
	s_cselect_b32 s12, s12, 1
	s_cselect_b32 s13, s13, 0
	v_mad_u64_u32 v[21:22], null, s12, v15, 0
	v_mov_b32_e32 v0, v10
	s_load_dwordx2 s[4:5], s[4:5], 0x50
	v_lshlrev_b64 v[19:20], 4, v[19:20]
	v_mad_u64_u32 v[11:12], null, s7, v15, v[0:1]
	v_mov_b32_e32 v10, v22
	v_mad_u64_u32 v[24:25], null, s13, v15, v[10:11]
	v_mov_b32_e32 v10, v11
	v_mov_b32_e32 v11, 0
	v_mov_b32_e32 v12, 0
	v_lshlrev_b64 v[9:10], 4, v[9:10]
	v_mov_b32_e32 v22, v24
	v_add_co_u32 v0, vcc_lo, v9, v17
	v_lshlrev_b64 v[21:22], 4, v[21:22]
	v_add_co_ci_u32_e64 v9, null, v10, v18, vcc_lo
	v_add_co_u32 v10, vcc_lo, v21, v19
	v_add_co_ci_u32_e64 v17, null, v22, v20, vcc_lo
	s_waitcnt lgkmcnt(0)
	v_add_co_u32 v0, vcc_lo, s10, v0
	v_add_co_ci_u32_e64 v9, null, s11, v9, vcc_lo
	v_add_co_u32 v10, vcc_lo, s4, v10
	v_add_co_ci_u32_e64 v20, null, s5, v17, vcc_lo
	;; [unrolled: 2-line block ×3, first 2 shown]
	v_add_co_u32 v19, vcc_lo, v10, 8
	v_mov_b32_e32 v22, v16
	v_mov_b32_e32 v9, v11
	v_add_co_ci_u32_e64 v20, null, 0, v20, vcc_lo
	v_mov_b32_e32 v21, v15
	v_mov_b32_e32 v10, v12
	s_mov_b32 s10, 0
	s_lshl_b64 s[4:5], s[6:7], 6
	s_lshl_b64 s[6:7], s[12:13], 6
	.p2align	6
.LBB47_22:                              ; =>This Inner Loop Header: Depth=1
	global_load_dwordx4 v[24:27], v[19:20], off offset:-8
	global_load_dwordx4 v[28:31], v[17:18], off offset:-8
	v_add_co_u32 v21, vcc_lo, v21, 4
	v_add_co_ci_u32_e64 v22, null, 0, v22, vcc_lo
	v_add_co_u32 v17, vcc_lo, v17, s4
	v_add_co_ci_u32_e64 v18, null, s5, v18, vcc_lo
	v_cmp_le_i64_e32 vcc_lo, s[8:9], v[21:22]
	v_add_co_u32 v19, s0, v19, s6
	v_add_co_ci_u32_e64 v20, null, s7, v20, s0
	s_or_b32 s10, vcc_lo, s10
	s_waitcnt vmcnt(0)
	v_mul_f64 v[32:33], v[26:27], -v[30:31]
	v_mul_f64 v[26:27], v[26:27], v[28:29]
	v_fma_f64 v[28:29], v[28:29], v[24:25], v[32:33]
	v_fma_f64 v[24:25], v[30:31], v[24:25], v[26:27]
	v_add_f64 v[9:10], v[9:10], v[28:29]
	v_add_f64 v[11:12], v[11:12], v[24:25]
	s_andn2_b32 exec_lo, exec_lo, s10
	s_cbranch_execnz .LBB47_22
; %bb.23:
	s_or_b32 exec_lo, exec_lo, s10
.LBB47_24:
	s_or_b32 exec_lo, exec_lo, s1
	v_lshlrev_b32_e32 v0, 6, v23
	s_mov_b32 s0, exec_lo
	v_lshl_or_b32 v16, v15, 4, v0
	ds_write_b128 v16, v[9:12]
	s_waitcnt lgkmcnt(0)
	s_barrier
	buffer_gl0_inv
	v_cmpx_gt_u32_e32 2, v15
	s_cbranch_execz .LBB47_26
; %bb.25:
	ds_read_b128 v[9:12], v16
	ds_read_b128 v[17:20], v16 offset:32
	s_waitcnt lgkmcnt(0)
	v_add_f64 v[9:10], v[17:18], v[9:10]
	v_add_f64 v[11:12], v[19:20], v[11:12]
	ds_write_b128 v16, v[9:12]
.LBB47_26:
	s_or_b32 exec_lo, exec_lo, s0
	v_cmp_eq_u32_e32 vcc_lo, 0, v15
	s_waitcnt lgkmcnt(0)
	s_barrier
	buffer_gl0_inv
	s_and_saveexec_b32 s0, vcc_lo
	s_cbranch_execz .LBB47_28
; %bb.27:
	ds_read_b128 v[9:12], v16
	ds_read_b128 v[17:20], v16 offset:16
	s_waitcnt lgkmcnt(0)
	v_add_f64 v[9:10], v[17:18], v[9:10]
	v_add_f64 v[11:12], v[19:20], v[11:12]
	ds_write_b128 v16, v[9:12]
.LBB47_28:
	s_or_b32 exec_lo, exec_lo, s0
	s_waitcnt lgkmcnt(0)
	s_barrier
	buffer_gl0_inv
	s_and_b32 exec_lo, exec_lo, vcc_lo
	s_cbranch_execz .LBB47_30
; %bb.29:
	v_lshlrev_b64 v[9:10], 4, v[13:14]
	ds_read_b128 v[13:16], v0
	v_add_co_u32 v17, vcc_lo, s2, v9
	v_add_co_ci_u32_e64 v18, null, s3, v10, vcc_lo
	global_load_dwordx4 v[9:12], v[17:18], off
	s_waitcnt lgkmcnt(0)
	v_mul_f64 v[19:20], v[15:16], -v[3:4]
	v_mul_f64 v[15:16], v[1:2], v[15:16]
	v_fma_f64 v[0:1], v[1:2], v[13:14], v[19:20]
	v_fma_f64 v[2:3], v[3:4], v[13:14], v[15:16]
	s_waitcnt vmcnt(0)
	v_mul_f64 v[21:22], v[7:8], -v[11:12]
	v_mul_f64 v[7:8], v[7:8], v[9:10]
	v_fma_f64 v[9:10], v[9:10], v[5:6], v[21:22]
	v_fma_f64 v[4:5], v[11:12], v[5:6], v[7:8]
	v_add_f64 v[0:1], v[9:10], v[0:1]
	v_add_f64 v[2:3], v[4:5], v[2:3]
	global_store_dwordx4 v[17:18], v[0:3], off
.LBB47_30:
	s_endpgm
	.section	.rodata,"a",@progbits
	.p2align	6, 0x0
	.amdhsa_kernel _ZN9rocsparseL17sddmm_coox_kernelILi512ELi4ELb0E21rocsparse_complex_numIdEllS2_S2_S2_EEv20rocsparse_operation_S3_16rocsparse_order_S4_T4_S5_S5_T3_NS_24const_host_device_scalarIT2_EEPKT5_lPKT6_lS9_PT7_PKS6_SJ_21rocsparse_index_base_b
		.amdhsa_group_segment_fixed_size 8192
		.amdhsa_private_segment_fixed_size 0
		.amdhsa_kernarg_size 144
		.amdhsa_user_sgpr_count 6
		.amdhsa_user_sgpr_private_segment_buffer 1
		.amdhsa_user_sgpr_dispatch_ptr 0
		.amdhsa_user_sgpr_queue_ptr 0
		.amdhsa_user_sgpr_kernarg_segment_ptr 1
		.amdhsa_user_sgpr_dispatch_id 0
		.amdhsa_user_sgpr_flat_scratch_init 0
		.amdhsa_user_sgpr_private_segment_size 0
		.amdhsa_wavefront_size32 1
		.amdhsa_uses_dynamic_stack 0
		.amdhsa_system_sgpr_private_segment_wavefront_offset 0
		.amdhsa_system_sgpr_workgroup_id_x 1
		.amdhsa_system_sgpr_workgroup_id_y 0
		.amdhsa_system_sgpr_workgroup_id_z 0
		.amdhsa_system_sgpr_workgroup_info 0
		.amdhsa_system_vgpr_workitem_id 0
		.amdhsa_next_free_vgpr 34
		.amdhsa_next_free_sgpr 18
		.amdhsa_reserve_vcc 1
		.amdhsa_reserve_flat_scratch 0
		.amdhsa_float_round_mode_32 0
		.amdhsa_float_round_mode_16_64 0
		.amdhsa_float_denorm_mode_32 3
		.amdhsa_float_denorm_mode_16_64 3
		.amdhsa_dx10_clamp 1
		.amdhsa_ieee_mode 1
		.amdhsa_fp16_overflow 0
		.amdhsa_workgroup_processor_mode 1
		.amdhsa_memory_ordered 1
		.amdhsa_forward_progress 1
		.amdhsa_shared_vgpr_count 0
		.amdhsa_exception_fp_ieee_invalid_op 0
		.amdhsa_exception_fp_denorm_src 0
		.amdhsa_exception_fp_ieee_div_zero 0
		.amdhsa_exception_fp_ieee_overflow 0
		.amdhsa_exception_fp_ieee_underflow 0
		.amdhsa_exception_fp_ieee_inexact 0
		.amdhsa_exception_int_div_zero 0
	.end_amdhsa_kernel
	.section	.text._ZN9rocsparseL17sddmm_coox_kernelILi512ELi4ELb0E21rocsparse_complex_numIdEllS2_S2_S2_EEv20rocsparse_operation_S3_16rocsparse_order_S4_T4_S5_S5_T3_NS_24const_host_device_scalarIT2_EEPKT5_lPKT6_lS9_PT7_PKS6_SJ_21rocsparse_index_base_b,"axG",@progbits,_ZN9rocsparseL17sddmm_coox_kernelILi512ELi4ELb0E21rocsparse_complex_numIdEllS2_S2_S2_EEv20rocsparse_operation_S3_16rocsparse_order_S4_T4_S5_S5_T3_NS_24const_host_device_scalarIT2_EEPKT5_lPKT6_lS9_PT7_PKS6_SJ_21rocsparse_index_base_b,comdat
.Lfunc_end47:
	.size	_ZN9rocsparseL17sddmm_coox_kernelILi512ELi4ELb0E21rocsparse_complex_numIdEllS2_S2_S2_EEv20rocsparse_operation_S3_16rocsparse_order_S4_T4_S5_S5_T3_NS_24const_host_device_scalarIT2_EEPKT5_lPKT6_lS9_PT7_PKS6_SJ_21rocsparse_index_base_b, .Lfunc_end47-_ZN9rocsparseL17sddmm_coox_kernelILi512ELi4ELb0E21rocsparse_complex_numIdEllS2_S2_S2_EEv20rocsparse_operation_S3_16rocsparse_order_S4_T4_S5_S5_T3_NS_24const_host_device_scalarIT2_EEPKT5_lPKT6_lS9_PT7_PKS6_SJ_21rocsparse_index_base_b
                                        ; -- End function
	.set _ZN9rocsparseL17sddmm_coox_kernelILi512ELi4ELb0E21rocsparse_complex_numIdEllS2_S2_S2_EEv20rocsparse_operation_S3_16rocsparse_order_S4_T4_S5_S5_T3_NS_24const_host_device_scalarIT2_EEPKT5_lPKT6_lS9_PT7_PKS6_SJ_21rocsparse_index_base_b.num_vgpr, 34
	.set _ZN9rocsparseL17sddmm_coox_kernelILi512ELi4ELb0E21rocsparse_complex_numIdEllS2_S2_S2_EEv20rocsparse_operation_S3_16rocsparse_order_S4_T4_S5_S5_T3_NS_24const_host_device_scalarIT2_EEPKT5_lPKT6_lS9_PT7_PKS6_SJ_21rocsparse_index_base_b.num_agpr, 0
	.set _ZN9rocsparseL17sddmm_coox_kernelILi512ELi4ELb0E21rocsparse_complex_numIdEllS2_S2_S2_EEv20rocsparse_operation_S3_16rocsparse_order_S4_T4_S5_S5_T3_NS_24const_host_device_scalarIT2_EEPKT5_lPKT6_lS9_PT7_PKS6_SJ_21rocsparse_index_base_b.numbered_sgpr, 18
	.set _ZN9rocsparseL17sddmm_coox_kernelILi512ELi4ELb0E21rocsparse_complex_numIdEllS2_S2_S2_EEv20rocsparse_operation_S3_16rocsparse_order_S4_T4_S5_S5_T3_NS_24const_host_device_scalarIT2_EEPKT5_lPKT6_lS9_PT7_PKS6_SJ_21rocsparse_index_base_b.num_named_barrier, 0
	.set _ZN9rocsparseL17sddmm_coox_kernelILi512ELi4ELb0E21rocsparse_complex_numIdEllS2_S2_S2_EEv20rocsparse_operation_S3_16rocsparse_order_S4_T4_S5_S5_T3_NS_24const_host_device_scalarIT2_EEPKT5_lPKT6_lS9_PT7_PKS6_SJ_21rocsparse_index_base_b.private_seg_size, 0
	.set _ZN9rocsparseL17sddmm_coox_kernelILi512ELi4ELb0E21rocsparse_complex_numIdEllS2_S2_S2_EEv20rocsparse_operation_S3_16rocsparse_order_S4_T4_S5_S5_T3_NS_24const_host_device_scalarIT2_EEPKT5_lPKT6_lS9_PT7_PKS6_SJ_21rocsparse_index_base_b.uses_vcc, 1
	.set _ZN9rocsparseL17sddmm_coox_kernelILi512ELi4ELb0E21rocsparse_complex_numIdEllS2_S2_S2_EEv20rocsparse_operation_S3_16rocsparse_order_S4_T4_S5_S5_T3_NS_24const_host_device_scalarIT2_EEPKT5_lPKT6_lS9_PT7_PKS6_SJ_21rocsparse_index_base_b.uses_flat_scratch, 0
	.set _ZN9rocsparseL17sddmm_coox_kernelILi512ELi4ELb0E21rocsparse_complex_numIdEllS2_S2_S2_EEv20rocsparse_operation_S3_16rocsparse_order_S4_T4_S5_S5_T3_NS_24const_host_device_scalarIT2_EEPKT5_lPKT6_lS9_PT7_PKS6_SJ_21rocsparse_index_base_b.has_dyn_sized_stack, 0
	.set _ZN9rocsparseL17sddmm_coox_kernelILi512ELi4ELb0E21rocsparse_complex_numIdEllS2_S2_S2_EEv20rocsparse_operation_S3_16rocsparse_order_S4_T4_S5_S5_T3_NS_24const_host_device_scalarIT2_EEPKT5_lPKT6_lS9_PT7_PKS6_SJ_21rocsparse_index_base_b.has_recursion, 0
	.set _ZN9rocsparseL17sddmm_coox_kernelILi512ELi4ELb0E21rocsparse_complex_numIdEllS2_S2_S2_EEv20rocsparse_operation_S3_16rocsparse_order_S4_T4_S5_S5_T3_NS_24const_host_device_scalarIT2_EEPKT5_lPKT6_lS9_PT7_PKS6_SJ_21rocsparse_index_base_b.has_indirect_call, 0
	.section	.AMDGPU.csdata,"",@progbits
; Kernel info:
; codeLenInByte = 1436
; TotalNumSgprs: 20
; NumVgprs: 34
; ScratchSize: 0
; MemoryBound: 0
; FloatMode: 240
; IeeeMode: 1
; LDSByteSize: 8192 bytes/workgroup (compile time only)
; SGPRBlocks: 0
; VGPRBlocks: 4
; NumSGPRsForWavesPerEU: 20
; NumVGPRsForWavesPerEU: 34
; Occupancy: 16
; WaveLimiterHint : 1
; COMPUTE_PGM_RSRC2:SCRATCH_EN: 0
; COMPUTE_PGM_RSRC2:USER_SGPR: 6
; COMPUTE_PGM_RSRC2:TRAP_HANDLER: 0
; COMPUTE_PGM_RSRC2:TGID_X_EN: 1
; COMPUTE_PGM_RSRC2:TGID_Y_EN: 0
; COMPUTE_PGM_RSRC2:TGID_Z_EN: 0
; COMPUTE_PGM_RSRC2:TIDIG_COMP_CNT: 0
	.section	.text._ZN9rocsparseL17sddmm_coox_kernelILi512ELi2ELb0E21rocsparse_complex_numIdEllS2_S2_S2_EEv20rocsparse_operation_S3_16rocsparse_order_S4_T4_S5_S5_T3_NS_24const_host_device_scalarIT2_EEPKT5_lPKT6_lS9_PT7_PKS6_SJ_21rocsparse_index_base_b,"axG",@progbits,_ZN9rocsparseL17sddmm_coox_kernelILi512ELi2ELb0E21rocsparse_complex_numIdEllS2_S2_S2_EEv20rocsparse_operation_S3_16rocsparse_order_S4_T4_S5_S5_T3_NS_24const_host_device_scalarIT2_EEPKT5_lPKT6_lS9_PT7_PKS6_SJ_21rocsparse_index_base_b,comdat
	.globl	_ZN9rocsparseL17sddmm_coox_kernelILi512ELi2ELb0E21rocsparse_complex_numIdEllS2_S2_S2_EEv20rocsparse_operation_S3_16rocsparse_order_S4_T4_S5_S5_T3_NS_24const_host_device_scalarIT2_EEPKT5_lPKT6_lS9_PT7_PKS6_SJ_21rocsparse_index_base_b ; -- Begin function _ZN9rocsparseL17sddmm_coox_kernelILi512ELi2ELb0E21rocsparse_complex_numIdEllS2_S2_S2_EEv20rocsparse_operation_S3_16rocsparse_order_S4_T4_S5_S5_T3_NS_24const_host_device_scalarIT2_EEPKT5_lPKT6_lS9_PT7_PKS6_SJ_21rocsparse_index_base_b
	.p2align	8
	.type	_ZN9rocsparseL17sddmm_coox_kernelILi512ELi2ELb0E21rocsparse_complex_numIdEllS2_S2_S2_EEv20rocsparse_operation_S3_16rocsparse_order_S4_T4_S5_S5_T3_NS_24const_host_device_scalarIT2_EEPKT5_lPKT6_lS9_PT7_PKS6_SJ_21rocsparse_index_base_b,@function
_ZN9rocsparseL17sddmm_coox_kernelILi512ELi2ELb0E21rocsparse_complex_numIdEllS2_S2_S2_EEv20rocsparse_operation_S3_16rocsparse_order_S4_T4_S5_S5_T3_NS_24const_host_device_scalarIT2_EEPKT5_lPKT6_lS9_PT7_PKS6_SJ_21rocsparse_index_base_b: ; @_ZN9rocsparseL17sddmm_coox_kernelILi512ELi2ELb0E21rocsparse_complex_numIdEllS2_S2_S2_EEv20rocsparse_operation_S3_16rocsparse_order_S4_T4_S5_S5_T3_NS_24const_host_device_scalarIT2_EEPKT5_lPKT6_lS9_PT7_PKS6_SJ_21rocsparse_index_base_b
; %bb.0:
	s_clause 0x1
	s_load_dwordx2 s[16:17], s[4:5], 0x88
	s_load_dwordx2 s[0:1], s[4:5], 0x30
	s_add_u32 s2, s4, 48
	s_addc_u32 s3, s5, 0
	s_add_u32 s7, s4, 0x60
	s_addc_u32 s8, s5, 0
	s_load_dwordx4 s[12:15], s[4:5], 0x58
	s_waitcnt lgkmcnt(0)
	s_bitcmp1_b32 s17, 0
	s_cselect_b32 s0, s2, s0
	s_cselect_b32 s1, s3, s1
	v_mov_b32_e32 v1, s0
	v_mov_b32_e32 v2, s1
	s_cselect_b32 s0, s7, s14
	s_cselect_b32 s1, s8, s15
	v_mov_b32_e32 v5, s0
	v_mov_b32_e32 v6, s1
	flat_load_dwordx4 v[1:4], v[1:2]
	flat_load_dwordx4 v[5:8], v[5:6]
	s_waitcnt vmcnt(1) lgkmcnt(1)
	v_cmp_eq_f64_e32 vcc_lo, 0, v[1:2]
	v_cmp_eq_f64_e64 s0, 0, v[3:4]
	s_and_b32 s2, vcc_lo, s0
	s_mov_b32 s0, -1
	s_and_saveexec_b32 s1, s2
	s_cbranch_execz .LBB48_2
; %bb.1:
	s_waitcnt vmcnt(0) lgkmcnt(0)
	v_cmp_neq_f64_e32 vcc_lo, 1.0, v[5:6]
	v_cmp_neq_f64_e64 s0, 0, v[7:8]
	s_or_b32 s0, vcc_lo, s0
	s_orn2_b32 s0, s0, exec_lo
.LBB48_2:
	s_or_b32 exec_lo, exec_lo, s1
	s_and_saveexec_b32 s1, s0
	s_cbranch_execz .LBB48_28
; %bb.3:
	s_load_dwordx4 s[8:11], s[4:5], 0x20
	v_lshrrev_b32_e32 v23, 1, v0
	v_mov_b32_e32 v14, 0
	v_lshl_or_b32 v13, s6, 8, v23
	s_waitcnt lgkmcnt(0)
	v_cmp_gt_i64_e32 vcc_lo, s[10:11], v[13:14]
	s_and_b32 exec_lo, exec_lo, vcc_lo
	s_cbranch_execz .LBB48_28
; %bb.4:
	s_load_dwordx4 s[0:3], s[4:5], 0x78
	v_lshlrev_b64 v[9:10], 3, v[13:14]
	s_waitcnt lgkmcnt(0)
	v_add_co_u32 v11, vcc_lo, s0, v9
	v_add_co_ci_u32_e64 v12, null, s1, v10, vcc_lo
	v_add_co_u32 v9, vcc_lo, s2, v9
	v_add_co_ci_u32_e64 v10, null, s3, v10, vcc_lo
	global_load_dwordx2 v[11:12], v[11:12], off
	global_load_dwordx2 v[9:10], v[9:10], off
	s_clause 0x1
	s_load_dwordx4 s[0:3], s[4:5], 0x0
	s_load_dwordx2 s[6:7], s[4:5], 0x48
	s_waitcnt lgkmcnt(0)
	s_cmp_eq_u32 s2, 1
	s_cselect_b32 s10, -1, 0
	s_cmpk_eq_i32 s0, 0x6f
	s_cselect_b32 s11, -1, 0
	s_cmpk_lg_i32 s0, 0x6f
	s_cselect_b32 s0, -1, 0
	s_cmp_lg_u32 s2, 1
	s_waitcnt vmcnt(1)
	v_sub_co_u32 v11, vcc_lo, v11, s16
	v_subrev_co_ci_u32_e64 v12, null, 0, v12, vcc_lo
	s_cbranch_scc0 .LBB48_8
; %bb.5:
	v_mov_b32_e32 v18, v12
	v_mov_b32_e32 v17, v11
	s_andn2_b32 vcc_lo, exec_lo, s11
	s_cbranch_vccnz .LBB48_7
; %bb.6:
	v_mul_lo_u32 v15, v12, s6
	v_mul_lo_u32 v16, v11, s7
	v_mad_u64_u32 v[17:18], null, v11, s6, 0
	v_add3_u32 v18, v18, v16, v15
.LBB48_7:
	s_cbranch_execz .LBB48_9
	s_branch .LBB48_12
.LBB48_8:
                                        ; implicit-def: $vgpr17_vgpr18
.LBB48_9:
	s_andn2_b32 vcc_lo, exec_lo, s0
	s_cbranch_vccnz .LBB48_11
; %bb.10:
	v_mul_lo_u32 v15, v12, s6
	v_mul_lo_u32 v16, v11, s7
	v_mad_u64_u32 v[11:12], null, v11, s6, 0
	v_add3_u32 v12, v12, v16, v15
.LBB48_11:
	v_mov_b32_e32 v18, v12
	v_mov_b32_e32 v17, v11
.LBB48_12:
	s_cmp_eq_u32 s3, 1
	s_waitcnt vmcnt(0)
	v_sub_co_u32 v9, vcc_lo, v9, s16
	s_cselect_b32 s0, -1, 0
	s_cmpk_eq_i32 s1, 0x6f
	v_subrev_co_ci_u32_e64 v10, null, 0, v10, vcc_lo
	s_cselect_b32 s14, -1, 0
	s_cmpk_lg_i32 s1, 0x6f
	s_cselect_b32 s1, -1, 0
	s_cmp_lg_u32 s3, 1
	s_cbranch_scc0 .LBB48_16
; %bb.13:
	v_mov_b32_e32 v20, v10
	v_mov_b32_e32 v19, v9
	s_andn2_b32 vcc_lo, exec_lo, s1
	s_cbranch_vccnz .LBB48_15
; %bb.14:
	v_mul_lo_u32 v11, v10, s12
	v_mul_lo_u32 v12, v9, s13
	v_mad_u64_u32 v[19:20], null, v9, s12, 0
	v_add3_u32 v20, v20, v12, v11
.LBB48_15:
	s_cbranch_execz .LBB48_17
	s_branch .LBB48_20
.LBB48_16:
                                        ; implicit-def: $vgpr19_vgpr20
.LBB48_17:
	s_andn2_b32 vcc_lo, exec_lo, s14
	s_cbranch_vccnz .LBB48_19
; %bb.18:
	v_mul_lo_u32 v11, v10, s12
	v_mul_lo_u32 v12, v9, s13
	v_mad_u64_u32 v[9:10], null, v9, s12, 0
	v_add3_u32 v10, v10, v12, v11
.LBB48_19:
	v_mov_b32_e32 v20, v10
	v_mov_b32_e32 v19, v9
.LBB48_20:
	s_load_dwordx2 s[2:3], s[4:5], 0x70
	v_mov_b32_e32 v11, 0
	v_mov_b32_e32 v9, 0
	v_and_b32_e32 v15, 1, v0
	v_mov_b32_e32 v16, 0
	v_mov_b32_e32 v12, 0
	;; [unrolled: 1-line block ×3, first 2 shown]
	s_mov_b32 s1, exec_lo
	v_cmpx_gt_i64_e64 s[8:9], v[15:16]
	s_cbranch_execz .LBB48_24
; %bb.21:
	s_xor_b32 s15, s11, s10
	s_load_dwordx2 s[10:11], s[4:5], 0x40
	s_and_b32 s15, s15, exec_lo
	s_cselect_b32 s7, 0, s7
	s_cselect_b32 s6, 1, s6
	v_mul_lo_u32 v10, s7, v15
	v_mul_lo_u32 v9, s6, v15
	s_xor_b32 s0, s14, s0
	s_load_dwordx2 s[4:5], s[4:5], 0x50
	s_and_b32 s0, s0, exec_lo
	s_cselect_b32 s13, s13, 0
	s_cselect_b32 s12, s12, 1
	v_lshlrev_b64 v[11:12], 4, v[17:18]
	v_mul_lo_u32 v18, s13, v15
	v_lshlrev_b64 v[9:10], 4, v[9:10]
	v_mul_lo_u32 v17, s12, v15
	v_lshlrev_b64 v[19:20], 4, v[19:20]
	v_mov_b32_e32 v22, v16
	v_mov_b32_e32 v21, v15
	v_add_co_u32 v0, vcc_lo, v9, v11
	v_add_co_ci_u32_e64 v11, null, v10, v12, vcc_lo
	v_lshlrev_b64 v[9:10], 4, v[17:18]
	s_waitcnt lgkmcnt(0)
	v_add_co_u32 v0, vcc_lo, s10, v0
	v_add_co_ci_u32_e64 v11, null, s11, v11, vcc_lo
	s_mov_b32 s10, 0
	v_add_co_u32 v9, vcc_lo, v9, v19
	v_add_co_ci_u32_e64 v10, null, v10, v20, vcc_lo
	v_add_co_u32 v17, vcc_lo, v0, 8
	v_add_co_ci_u32_e64 v18, null, 0, v11, vcc_lo
	;; [unrolled: 2-line block ×3, first 2 shown]
	v_mov_b32_e32 v11, 0
	v_mov_b32_e32 v12, 0
	v_add_co_u32 v19, vcc_lo, v0, 8
	v_add_co_ci_u32_e64 v20, null, 0, v9, vcc_lo
	v_mov_b32_e32 v9, v11
	v_mov_b32_e32 v10, v12
	s_lshl_b64 s[4:5], s[6:7], 5
	s_lshl_b64 s[6:7], s[12:13], 5
	.p2align	6
.LBB48_22:                              ; =>This Inner Loop Header: Depth=1
	global_load_dwordx4 v[24:27], v[19:20], off offset:-8
	global_load_dwordx4 v[28:31], v[17:18], off offset:-8
	v_add_co_u32 v21, vcc_lo, v21, 2
	v_add_co_ci_u32_e64 v22, null, 0, v22, vcc_lo
	v_add_co_u32 v17, vcc_lo, v17, s4
	v_add_co_ci_u32_e64 v18, null, s5, v18, vcc_lo
	v_cmp_le_i64_e32 vcc_lo, s[8:9], v[21:22]
	v_add_co_u32 v19, s0, v19, s6
	v_add_co_ci_u32_e64 v20, null, s7, v20, s0
	s_or_b32 s10, vcc_lo, s10
	s_waitcnt vmcnt(0)
	v_mul_f64 v[32:33], v[26:27], -v[30:31]
	v_mul_f64 v[26:27], v[26:27], v[28:29]
	v_fma_f64 v[28:29], v[28:29], v[24:25], v[32:33]
	v_fma_f64 v[24:25], v[30:31], v[24:25], v[26:27]
	v_add_f64 v[9:10], v[9:10], v[28:29]
	v_add_f64 v[11:12], v[11:12], v[24:25]
	s_andn2_b32 exec_lo, exec_lo, s10
	s_cbranch_execnz .LBB48_22
; %bb.23:
	s_or_b32 exec_lo, exec_lo, s10
.LBB48_24:
	s_or_b32 exec_lo, exec_lo, s1
	v_lshlrev_b32_e32 v0, 5, v23
	v_cmp_eq_u32_e32 vcc_lo, 0, v15
	v_lshl_or_b32 v16, v15, 4, v0
	ds_write_b128 v16, v[9:12]
	s_waitcnt lgkmcnt(0)
	s_barrier
	buffer_gl0_inv
	s_and_saveexec_b32 s0, vcc_lo
	s_cbranch_execz .LBB48_26
; %bb.25:
	ds_read_b128 v[9:12], v0 offset:16
	ds_read_b128 v[17:20], v16
	s_waitcnt lgkmcnt(0)
	v_add_f64 v[9:10], v[9:10], v[17:18]
	v_add_f64 v[11:12], v[11:12], v[19:20]
	ds_write_b128 v16, v[9:12]
.LBB48_26:
	s_or_b32 exec_lo, exec_lo, s0
	s_waitcnt lgkmcnt(0)
	s_barrier
	buffer_gl0_inv
	s_and_b32 exec_lo, exec_lo, vcc_lo
	s_cbranch_execz .LBB48_28
; %bb.27:
	v_lshlrev_b64 v[9:10], 4, v[13:14]
	ds_read_b128 v[13:16], v0
	v_add_co_u32 v17, vcc_lo, s2, v9
	v_add_co_ci_u32_e64 v18, null, s3, v10, vcc_lo
	global_load_dwordx4 v[9:12], v[17:18], off
	s_waitcnt lgkmcnt(0)
	v_mul_f64 v[19:20], v[15:16], -v[3:4]
	v_mul_f64 v[15:16], v[1:2], v[15:16]
	v_fma_f64 v[0:1], v[1:2], v[13:14], v[19:20]
	v_fma_f64 v[2:3], v[3:4], v[13:14], v[15:16]
	s_waitcnt vmcnt(0)
	v_mul_f64 v[21:22], v[7:8], -v[11:12]
	v_mul_f64 v[7:8], v[7:8], v[9:10]
	v_fma_f64 v[9:10], v[9:10], v[5:6], v[21:22]
	v_fma_f64 v[4:5], v[11:12], v[5:6], v[7:8]
	v_add_f64 v[0:1], v[9:10], v[0:1]
	v_add_f64 v[2:3], v[4:5], v[2:3]
	global_store_dwordx4 v[17:18], v[0:3], off
.LBB48_28:
	s_endpgm
	.section	.rodata,"a",@progbits
	.p2align	6, 0x0
	.amdhsa_kernel _ZN9rocsparseL17sddmm_coox_kernelILi512ELi2ELb0E21rocsparse_complex_numIdEllS2_S2_S2_EEv20rocsparse_operation_S3_16rocsparse_order_S4_T4_S5_S5_T3_NS_24const_host_device_scalarIT2_EEPKT5_lPKT6_lS9_PT7_PKS6_SJ_21rocsparse_index_base_b
		.amdhsa_group_segment_fixed_size 8192
		.amdhsa_private_segment_fixed_size 0
		.amdhsa_kernarg_size 144
		.amdhsa_user_sgpr_count 6
		.amdhsa_user_sgpr_private_segment_buffer 1
		.amdhsa_user_sgpr_dispatch_ptr 0
		.amdhsa_user_sgpr_queue_ptr 0
		.amdhsa_user_sgpr_kernarg_segment_ptr 1
		.amdhsa_user_sgpr_dispatch_id 0
		.amdhsa_user_sgpr_flat_scratch_init 0
		.amdhsa_user_sgpr_private_segment_size 0
		.amdhsa_wavefront_size32 1
		.amdhsa_uses_dynamic_stack 0
		.amdhsa_system_sgpr_private_segment_wavefront_offset 0
		.amdhsa_system_sgpr_workgroup_id_x 1
		.amdhsa_system_sgpr_workgroup_id_y 0
		.amdhsa_system_sgpr_workgroup_id_z 0
		.amdhsa_system_sgpr_workgroup_info 0
		.amdhsa_system_vgpr_workitem_id 0
		.amdhsa_next_free_vgpr 34
		.amdhsa_next_free_sgpr 18
		.amdhsa_reserve_vcc 1
		.amdhsa_reserve_flat_scratch 0
		.amdhsa_float_round_mode_32 0
		.amdhsa_float_round_mode_16_64 0
		.amdhsa_float_denorm_mode_32 3
		.amdhsa_float_denorm_mode_16_64 3
		.amdhsa_dx10_clamp 1
		.amdhsa_ieee_mode 1
		.amdhsa_fp16_overflow 0
		.amdhsa_workgroup_processor_mode 1
		.amdhsa_memory_ordered 1
		.amdhsa_forward_progress 1
		.amdhsa_shared_vgpr_count 0
		.amdhsa_exception_fp_ieee_invalid_op 0
		.amdhsa_exception_fp_denorm_src 0
		.amdhsa_exception_fp_ieee_div_zero 0
		.amdhsa_exception_fp_ieee_overflow 0
		.amdhsa_exception_fp_ieee_underflow 0
		.amdhsa_exception_fp_ieee_inexact 0
		.amdhsa_exception_int_div_zero 0
	.end_amdhsa_kernel
	.section	.text._ZN9rocsparseL17sddmm_coox_kernelILi512ELi2ELb0E21rocsparse_complex_numIdEllS2_S2_S2_EEv20rocsparse_operation_S3_16rocsparse_order_S4_T4_S5_S5_T3_NS_24const_host_device_scalarIT2_EEPKT5_lPKT6_lS9_PT7_PKS6_SJ_21rocsparse_index_base_b,"axG",@progbits,_ZN9rocsparseL17sddmm_coox_kernelILi512ELi2ELb0E21rocsparse_complex_numIdEllS2_S2_S2_EEv20rocsparse_operation_S3_16rocsparse_order_S4_T4_S5_S5_T3_NS_24const_host_device_scalarIT2_EEPKT5_lPKT6_lS9_PT7_PKS6_SJ_21rocsparse_index_base_b,comdat
.Lfunc_end48:
	.size	_ZN9rocsparseL17sddmm_coox_kernelILi512ELi2ELb0E21rocsparse_complex_numIdEllS2_S2_S2_EEv20rocsparse_operation_S3_16rocsparse_order_S4_T4_S5_S5_T3_NS_24const_host_device_scalarIT2_EEPKT5_lPKT6_lS9_PT7_PKS6_SJ_21rocsparse_index_base_b, .Lfunc_end48-_ZN9rocsparseL17sddmm_coox_kernelILi512ELi2ELb0E21rocsparse_complex_numIdEllS2_S2_S2_EEv20rocsparse_operation_S3_16rocsparse_order_S4_T4_S5_S5_T3_NS_24const_host_device_scalarIT2_EEPKT5_lPKT6_lS9_PT7_PKS6_SJ_21rocsparse_index_base_b
                                        ; -- End function
	.set _ZN9rocsparseL17sddmm_coox_kernelILi512ELi2ELb0E21rocsparse_complex_numIdEllS2_S2_S2_EEv20rocsparse_operation_S3_16rocsparse_order_S4_T4_S5_S5_T3_NS_24const_host_device_scalarIT2_EEPKT5_lPKT6_lS9_PT7_PKS6_SJ_21rocsparse_index_base_b.num_vgpr, 34
	.set _ZN9rocsparseL17sddmm_coox_kernelILi512ELi2ELb0E21rocsparse_complex_numIdEllS2_S2_S2_EEv20rocsparse_operation_S3_16rocsparse_order_S4_T4_S5_S5_T3_NS_24const_host_device_scalarIT2_EEPKT5_lPKT6_lS9_PT7_PKS6_SJ_21rocsparse_index_base_b.num_agpr, 0
	.set _ZN9rocsparseL17sddmm_coox_kernelILi512ELi2ELb0E21rocsparse_complex_numIdEllS2_S2_S2_EEv20rocsparse_operation_S3_16rocsparse_order_S4_T4_S5_S5_T3_NS_24const_host_device_scalarIT2_EEPKT5_lPKT6_lS9_PT7_PKS6_SJ_21rocsparse_index_base_b.numbered_sgpr, 18
	.set _ZN9rocsparseL17sddmm_coox_kernelILi512ELi2ELb0E21rocsparse_complex_numIdEllS2_S2_S2_EEv20rocsparse_operation_S3_16rocsparse_order_S4_T4_S5_S5_T3_NS_24const_host_device_scalarIT2_EEPKT5_lPKT6_lS9_PT7_PKS6_SJ_21rocsparse_index_base_b.num_named_barrier, 0
	.set _ZN9rocsparseL17sddmm_coox_kernelILi512ELi2ELb0E21rocsparse_complex_numIdEllS2_S2_S2_EEv20rocsparse_operation_S3_16rocsparse_order_S4_T4_S5_S5_T3_NS_24const_host_device_scalarIT2_EEPKT5_lPKT6_lS9_PT7_PKS6_SJ_21rocsparse_index_base_b.private_seg_size, 0
	.set _ZN9rocsparseL17sddmm_coox_kernelILi512ELi2ELb0E21rocsparse_complex_numIdEllS2_S2_S2_EEv20rocsparse_operation_S3_16rocsparse_order_S4_T4_S5_S5_T3_NS_24const_host_device_scalarIT2_EEPKT5_lPKT6_lS9_PT7_PKS6_SJ_21rocsparse_index_base_b.uses_vcc, 1
	.set _ZN9rocsparseL17sddmm_coox_kernelILi512ELi2ELb0E21rocsparse_complex_numIdEllS2_S2_S2_EEv20rocsparse_operation_S3_16rocsparse_order_S4_T4_S5_S5_T3_NS_24const_host_device_scalarIT2_EEPKT5_lPKT6_lS9_PT7_PKS6_SJ_21rocsparse_index_base_b.uses_flat_scratch, 0
	.set _ZN9rocsparseL17sddmm_coox_kernelILi512ELi2ELb0E21rocsparse_complex_numIdEllS2_S2_S2_EEv20rocsparse_operation_S3_16rocsparse_order_S4_T4_S5_S5_T3_NS_24const_host_device_scalarIT2_EEPKT5_lPKT6_lS9_PT7_PKS6_SJ_21rocsparse_index_base_b.has_dyn_sized_stack, 0
	.set _ZN9rocsparseL17sddmm_coox_kernelILi512ELi2ELb0E21rocsparse_complex_numIdEllS2_S2_S2_EEv20rocsparse_operation_S3_16rocsparse_order_S4_T4_S5_S5_T3_NS_24const_host_device_scalarIT2_EEPKT5_lPKT6_lS9_PT7_PKS6_SJ_21rocsparse_index_base_b.has_recursion, 0
	.set _ZN9rocsparseL17sddmm_coox_kernelILi512ELi2ELb0E21rocsparse_complex_numIdEllS2_S2_S2_EEv20rocsparse_operation_S3_16rocsparse_order_S4_T4_S5_S5_T3_NS_24const_host_device_scalarIT2_EEPKT5_lPKT6_lS9_PT7_PKS6_SJ_21rocsparse_index_base_b.has_indirect_call, 0
	.section	.AMDGPU.csdata,"",@progbits
; Kernel info:
; codeLenInByte = 1360
; TotalNumSgprs: 20
; NumVgprs: 34
; ScratchSize: 0
; MemoryBound: 0
; FloatMode: 240
; IeeeMode: 1
; LDSByteSize: 8192 bytes/workgroup (compile time only)
; SGPRBlocks: 0
; VGPRBlocks: 4
; NumSGPRsForWavesPerEU: 20
; NumVGPRsForWavesPerEU: 34
; Occupancy: 16
; WaveLimiterHint : 1
; COMPUTE_PGM_RSRC2:SCRATCH_EN: 0
; COMPUTE_PGM_RSRC2:USER_SGPR: 6
; COMPUTE_PGM_RSRC2:TRAP_HANDLER: 0
; COMPUTE_PGM_RSRC2:TGID_X_EN: 1
; COMPUTE_PGM_RSRC2:TGID_Y_EN: 0
; COMPUTE_PGM_RSRC2:TGID_Z_EN: 0
; COMPUTE_PGM_RSRC2:TIDIG_COMP_CNT: 0
	.section	.text._ZN9rocsparseL17sddmm_coox_kernelILi512ELi1ELb0E21rocsparse_complex_numIdEllS2_S2_S2_EEv20rocsparse_operation_S3_16rocsparse_order_S4_T4_S5_S5_T3_NS_24const_host_device_scalarIT2_EEPKT5_lPKT6_lS9_PT7_PKS6_SJ_21rocsparse_index_base_b,"axG",@progbits,_ZN9rocsparseL17sddmm_coox_kernelILi512ELi1ELb0E21rocsparse_complex_numIdEllS2_S2_S2_EEv20rocsparse_operation_S3_16rocsparse_order_S4_T4_S5_S5_T3_NS_24const_host_device_scalarIT2_EEPKT5_lPKT6_lS9_PT7_PKS6_SJ_21rocsparse_index_base_b,comdat
	.globl	_ZN9rocsparseL17sddmm_coox_kernelILi512ELi1ELb0E21rocsparse_complex_numIdEllS2_S2_S2_EEv20rocsparse_operation_S3_16rocsparse_order_S4_T4_S5_S5_T3_NS_24const_host_device_scalarIT2_EEPKT5_lPKT6_lS9_PT7_PKS6_SJ_21rocsparse_index_base_b ; -- Begin function _ZN9rocsparseL17sddmm_coox_kernelILi512ELi1ELb0E21rocsparse_complex_numIdEllS2_S2_S2_EEv20rocsparse_operation_S3_16rocsparse_order_S4_T4_S5_S5_T3_NS_24const_host_device_scalarIT2_EEPKT5_lPKT6_lS9_PT7_PKS6_SJ_21rocsparse_index_base_b
	.p2align	8
	.type	_ZN9rocsparseL17sddmm_coox_kernelILi512ELi1ELb0E21rocsparse_complex_numIdEllS2_S2_S2_EEv20rocsparse_operation_S3_16rocsparse_order_S4_T4_S5_S5_T3_NS_24const_host_device_scalarIT2_EEPKT5_lPKT6_lS9_PT7_PKS6_SJ_21rocsparse_index_base_b,@function
_ZN9rocsparseL17sddmm_coox_kernelILi512ELi1ELb0E21rocsparse_complex_numIdEllS2_S2_S2_EEv20rocsparse_operation_S3_16rocsparse_order_S4_T4_S5_S5_T3_NS_24const_host_device_scalarIT2_EEPKT5_lPKT6_lS9_PT7_PKS6_SJ_21rocsparse_index_base_b: ; @_ZN9rocsparseL17sddmm_coox_kernelILi512ELi1ELb0E21rocsparse_complex_numIdEllS2_S2_S2_EEv20rocsparse_operation_S3_16rocsparse_order_S4_T4_S5_S5_T3_NS_24const_host_device_scalarIT2_EEPKT5_lPKT6_lS9_PT7_PKS6_SJ_21rocsparse_index_base_b
; %bb.0:
	s_clause 0x1
	s_load_dwordx2 s[16:17], s[4:5], 0x88
	s_load_dwordx2 s[0:1], s[4:5], 0x30
	s_add_u32 s2, s4, 48
	s_addc_u32 s3, s5, 0
	s_add_u32 s7, s4, 0x60
	s_addc_u32 s12, s5, 0
	s_load_dwordx4 s[8:11], s[4:5], 0x58
	s_waitcnt lgkmcnt(0)
	s_bitcmp1_b32 s17, 0
	s_cselect_b32 s0, s2, s0
	s_cselect_b32 s1, s3, s1
	v_mov_b32_e32 v1, s0
	v_mov_b32_e32 v2, s1
	s_cselect_b32 s0, s7, s10
	s_cselect_b32 s1, s12, s11
	v_mov_b32_e32 v5, s0
	v_mov_b32_e32 v6, s1
	flat_load_dwordx4 v[1:4], v[1:2]
	flat_load_dwordx4 v[5:8], v[5:6]
	s_waitcnt vmcnt(1) lgkmcnt(1)
	v_cmp_eq_f64_e32 vcc_lo, 0, v[1:2]
	v_cmp_eq_f64_e64 s0, 0, v[3:4]
	s_and_b32 s2, vcc_lo, s0
	s_mov_b32 s0, -1
	s_and_saveexec_b32 s1, s2
	s_cbranch_execz .LBB49_2
; %bb.1:
	s_waitcnt vmcnt(0) lgkmcnt(0)
	v_cmp_neq_f64_e32 vcc_lo, 1.0, v[5:6]
	v_cmp_neq_f64_e64 s0, 0, v[7:8]
	s_or_b32 s0, vcc_lo, s0
	s_orn2_b32 s0, s0, exec_lo
.LBB49_2:
	s_or_b32 exec_lo, exec_lo, s1
	s_and_saveexec_b32 s1, s0
	s_cbranch_execz .LBB49_25
; %bb.3:
	s_load_dwordx4 s[0:3], s[4:5], 0x20
	v_lshl_or_b32 v13, s6, 9, v0
	v_mov_b32_e32 v14, 0
	s_waitcnt lgkmcnt(0)
	v_cmp_gt_i64_e32 vcc_lo, s[2:3], v[13:14]
	s_and_b32 exec_lo, exec_lo, vcc_lo
	s_cbranch_execz .LBB49_25
; %bb.4:
	s_load_dwordx4 s[12:15], s[4:5], 0x78
	v_lshlrev_b64 v[9:10], 3, v[13:14]
	s_waitcnt lgkmcnt(0)
	v_add_co_u32 v11, vcc_lo, s12, v9
	v_add_co_ci_u32_e64 v12, null, s13, v10, vcc_lo
	v_add_co_u32 v9, vcc_lo, s14, v9
	v_add_co_ci_u32_e64 v10, null, s15, v10, vcc_lo
	global_load_dwordx2 v[15:16], v[11:12], off
	global_load_dwordx2 v[11:12], v[9:10], off
	s_clause 0x1
	s_load_dwordx4 s[12:15], s[4:5], 0x0
	s_load_dwordx2 s[2:3], s[4:5], 0x48
	s_waitcnt lgkmcnt(0)
	s_cmp_eq_u32 s14, 1
	s_cselect_b32 s10, -1, 0
	s_cmpk_eq_i32 s12, 0x6f
	s_cselect_b32 s11, -1, 0
	s_cmpk_lg_i32 s12, 0x6f
	s_cselect_b32 s6, -1, 0
	s_cmp_lg_u32 s14, 1
	s_waitcnt vmcnt(1)
	v_sub_co_u32 v15, vcc_lo, v15, s16
	v_subrev_co_ci_u32_e64 v16, null, 0, v16, vcc_lo
	s_cbranch_scc0 .LBB49_8
; %bb.5:
	v_mov_b32_e32 v9, v15
	v_mov_b32_e32 v10, v16
	s_andn2_b32 vcc_lo, exec_lo, s11
	s_cbranch_vccnz .LBB49_7
; %bb.6:
	v_mul_lo_u32 v17, v16, s2
	v_mul_lo_u32 v18, v15, s3
	v_mad_u64_u32 v[9:10], null, v15, s2, 0
	v_add3_u32 v10, v10, v18, v17
.LBB49_7:
	s_cbranch_execz .LBB49_9
	s_branch .LBB49_12
.LBB49_8:
                                        ; implicit-def: $vgpr9_vgpr10
.LBB49_9:
	s_andn2_b32 vcc_lo, exec_lo, s6
	s_cbranch_vccnz .LBB49_11
; %bb.10:
	v_mul_lo_u32 v9, v16, s2
	v_mul_lo_u32 v10, v15, s3
	v_mad_u64_u32 v[15:16], null, v15, s2, 0
	v_add3_u32 v16, v16, v10, v9
.LBB49_11:
	v_mov_b32_e32 v9, v15
	v_mov_b32_e32 v10, v16
.LBB49_12:
	s_cmp_eq_u32 s15, 1
	s_waitcnt vmcnt(0)
	v_sub_co_u32 v11, vcc_lo, v11, s16
	s_cselect_b32 s12, -1, 0
	s_cmpk_eq_i32 s13, 0x6f
	v_subrev_co_ci_u32_e64 v12, null, 0, v12, vcc_lo
	s_cselect_b32 s14, -1, 0
	s_cmpk_lg_i32 s13, 0x6f
	s_cselect_b32 s6, -1, 0
	s_cmp_lg_u32 s15, 1
	s_cbranch_scc0 .LBB49_19
; %bb.13:
	v_mov_b32_e32 v16, v12
	v_mov_b32_e32 v15, v11
	s_andn2_b32 vcc_lo, exec_lo, s6
	s_cbranch_vccnz .LBB49_15
; %bb.14:
	v_mul_lo_u32 v17, v12, s8
	v_mul_lo_u32 v18, v11, s9
	v_mad_u64_u32 v[15:16], null, v11, s8, 0
	v_add3_u32 v16, v16, v18, v17
.LBB49_15:
	s_cbranch_execz .LBB49_20
; %bb.16:
	s_load_dwordx2 s[6:7], s[4:5], 0x70
	v_cmp_lt_i64_e64 s13, s[0:1], 1
	s_and_b32 vcc_lo, exec_lo, s13
	s_cbranch_vccnz .LBB49_23
.LBB49_17:
	s_clause 0x1
	s_load_dwordx2 s[16:17], s[4:5], 0x50
	s_load_dwordx2 s[4:5], s[4:5], 0x40
	v_lshlrev_b64 v[15:16], 4, v[15:16]
	v_lshlrev_b64 v[17:18], 4, v[9:10]
	s_xor_b32 s10, s11, s10
	v_mov_b32_e32 v11, 0
	s_and_b32 s10, s10, exec_lo
	s_cselect_b32 s11, 0, s3
	s_cselect_b32 s10, 1, s2
	s_xor_b32 s2, s14, s12
	v_mov_b32_e32 v9, 0
	v_mov_b32_e32 v12, 0
	;; [unrolled: 1-line block ×3, first 2 shown]
	s_and_b32 s2, s2, exec_lo
	s_cselect_b32 s3, s9, 0
	s_cselect_b32 s2, s8, 1
	s_lshl_b64 s[2:3], s[2:3], 4
	s_waitcnt lgkmcnt(0)
	v_add_co_u32 v15, vcc_lo, s16, v15
	v_add_co_ci_u32_e64 v16, null, s17, v16, vcc_lo
	v_add_co_u32 v17, vcc_lo, s4, v17
	v_add_co_ci_u32_e64 v18, null, s5, v18, vcc_lo
	;; [unrolled: 2-line block ×4, first 2 shown]
	s_lshl_b64 s[4:5], s[10:11], 4
	.p2align	6
.LBB49_18:                              ; =>This Inner Loop Header: Depth=1
	global_load_dwordx4 v[19:22], v[15:16], off offset:-8
	global_load_dwordx4 v[23:26], v[17:18], off offset:-8
	v_add_co_u32 v15, vcc_lo, v15, s2
	v_add_co_ci_u32_e64 v16, null, s3, v16, vcc_lo
	v_add_co_u32 v17, vcc_lo, v17, s4
	s_add_u32 s0, s0, -1
	v_add_co_ci_u32_e64 v18, null, s5, v18, vcc_lo
	s_addc_u32 s1, s1, -1
	s_cmp_eq_u64 s[0:1], 0
	s_waitcnt vmcnt(0)
	v_mul_f64 v[27:28], v[21:22], -v[25:26]
	v_mul_f64 v[21:22], v[21:22], v[23:24]
	v_fma_f64 v[23:24], v[23:24], v[19:20], v[27:28]
	v_fma_f64 v[19:20], v[25:26], v[19:20], v[21:22]
	v_add_f64 v[9:10], v[9:10], v[23:24]
	v_add_f64 v[11:12], v[11:12], v[19:20]
	s_cbranch_scc0 .LBB49_18
	s_branch .LBB49_24
.LBB49_19:
                                        ; implicit-def: $vgpr15_vgpr16
.LBB49_20:
	s_andn2_b32 vcc_lo, exec_lo, s14
	s_cbranch_vccnz .LBB49_22
; %bb.21:
	v_mul_lo_u32 v15, v12, s8
	v_mul_lo_u32 v16, v11, s9
	v_mad_u64_u32 v[11:12], null, v11, s8, 0
	v_add3_u32 v12, v12, v16, v15
.LBB49_22:
	v_mov_b32_e32 v16, v12
	v_mov_b32_e32 v15, v11
	s_load_dwordx2 s[6:7], s[4:5], 0x70
	v_cmp_lt_i64_e64 s13, s[0:1], 1
	s_and_b32 vcc_lo, exec_lo, s13
	s_cbranch_vccz .LBB49_17
.LBB49_23:
	v_mov_b32_e32 v11, 0
	v_mov_b32_e32 v9, 0
	;; [unrolled: 1-line block ×4, first 2 shown]
.LBB49_24:
	v_lshlrev_b64 v[13:14], 4, v[13:14]
	v_lshlrev_b32_e32 v0, 4, v0
	ds_write_b128 v0, v[9:12]
	s_waitcnt lgkmcnt(0)
	v_add_co_u32 v17, vcc_lo, s6, v13
	v_add_co_ci_u32_e64 v18, null, s7, v14, vcc_lo
	s_barrier
	buffer_gl0_inv
	global_load_dwordx4 v[9:12], v[17:18], off
	ds_read_b128 v[13:16], v0
	s_waitcnt lgkmcnt(0)
	v_mul_f64 v[19:20], v[15:16], -v[3:4]
	v_mul_f64 v[15:16], v[1:2], v[15:16]
	v_fma_f64 v[0:1], v[1:2], v[13:14], v[19:20]
	v_fma_f64 v[2:3], v[3:4], v[13:14], v[15:16]
	s_waitcnt vmcnt(0)
	v_mul_f64 v[21:22], v[7:8], -v[11:12]
	v_mul_f64 v[7:8], v[7:8], v[9:10]
	v_fma_f64 v[9:10], v[9:10], v[5:6], v[21:22]
	v_fma_f64 v[4:5], v[11:12], v[5:6], v[7:8]
	v_add_f64 v[0:1], v[9:10], v[0:1]
	v_add_f64 v[2:3], v[4:5], v[2:3]
	global_store_dwordx4 v[17:18], v[0:3], off
.LBB49_25:
	s_endpgm
	.section	.rodata,"a",@progbits
	.p2align	6, 0x0
	.amdhsa_kernel _ZN9rocsparseL17sddmm_coox_kernelILi512ELi1ELb0E21rocsparse_complex_numIdEllS2_S2_S2_EEv20rocsparse_operation_S3_16rocsparse_order_S4_T4_S5_S5_T3_NS_24const_host_device_scalarIT2_EEPKT5_lPKT6_lS9_PT7_PKS6_SJ_21rocsparse_index_base_b
		.amdhsa_group_segment_fixed_size 8192
		.amdhsa_private_segment_fixed_size 0
		.amdhsa_kernarg_size 144
		.amdhsa_user_sgpr_count 6
		.amdhsa_user_sgpr_private_segment_buffer 1
		.amdhsa_user_sgpr_dispatch_ptr 0
		.amdhsa_user_sgpr_queue_ptr 0
		.amdhsa_user_sgpr_kernarg_segment_ptr 1
		.amdhsa_user_sgpr_dispatch_id 0
		.amdhsa_user_sgpr_flat_scratch_init 0
		.amdhsa_user_sgpr_private_segment_size 0
		.amdhsa_wavefront_size32 1
		.amdhsa_uses_dynamic_stack 0
		.amdhsa_system_sgpr_private_segment_wavefront_offset 0
		.amdhsa_system_sgpr_workgroup_id_x 1
		.amdhsa_system_sgpr_workgroup_id_y 0
		.amdhsa_system_sgpr_workgroup_id_z 0
		.amdhsa_system_sgpr_workgroup_info 0
		.amdhsa_system_vgpr_workitem_id 0
		.amdhsa_next_free_vgpr 29
		.amdhsa_next_free_sgpr 18
		.amdhsa_reserve_vcc 1
		.amdhsa_reserve_flat_scratch 0
		.amdhsa_float_round_mode_32 0
		.amdhsa_float_round_mode_16_64 0
		.amdhsa_float_denorm_mode_32 3
		.amdhsa_float_denorm_mode_16_64 3
		.amdhsa_dx10_clamp 1
		.amdhsa_ieee_mode 1
		.amdhsa_fp16_overflow 0
		.amdhsa_workgroup_processor_mode 1
		.amdhsa_memory_ordered 1
		.amdhsa_forward_progress 1
		.amdhsa_shared_vgpr_count 0
		.amdhsa_exception_fp_ieee_invalid_op 0
		.amdhsa_exception_fp_denorm_src 0
		.amdhsa_exception_fp_ieee_div_zero 0
		.amdhsa_exception_fp_ieee_overflow 0
		.amdhsa_exception_fp_ieee_underflow 0
		.amdhsa_exception_fp_ieee_inexact 0
		.amdhsa_exception_int_div_zero 0
	.end_amdhsa_kernel
	.section	.text._ZN9rocsparseL17sddmm_coox_kernelILi512ELi1ELb0E21rocsparse_complex_numIdEllS2_S2_S2_EEv20rocsparse_operation_S3_16rocsparse_order_S4_T4_S5_S5_T3_NS_24const_host_device_scalarIT2_EEPKT5_lPKT6_lS9_PT7_PKS6_SJ_21rocsparse_index_base_b,"axG",@progbits,_ZN9rocsparseL17sddmm_coox_kernelILi512ELi1ELb0E21rocsparse_complex_numIdEllS2_S2_S2_EEv20rocsparse_operation_S3_16rocsparse_order_S4_T4_S5_S5_T3_NS_24const_host_device_scalarIT2_EEPKT5_lPKT6_lS9_PT7_PKS6_SJ_21rocsparse_index_base_b,comdat
.Lfunc_end49:
	.size	_ZN9rocsparseL17sddmm_coox_kernelILi512ELi1ELb0E21rocsparse_complex_numIdEllS2_S2_S2_EEv20rocsparse_operation_S3_16rocsparse_order_S4_T4_S5_S5_T3_NS_24const_host_device_scalarIT2_EEPKT5_lPKT6_lS9_PT7_PKS6_SJ_21rocsparse_index_base_b, .Lfunc_end49-_ZN9rocsparseL17sddmm_coox_kernelILi512ELi1ELb0E21rocsparse_complex_numIdEllS2_S2_S2_EEv20rocsparse_operation_S3_16rocsparse_order_S4_T4_S5_S5_T3_NS_24const_host_device_scalarIT2_EEPKT5_lPKT6_lS9_PT7_PKS6_SJ_21rocsparse_index_base_b
                                        ; -- End function
	.set _ZN9rocsparseL17sddmm_coox_kernelILi512ELi1ELb0E21rocsparse_complex_numIdEllS2_S2_S2_EEv20rocsparse_operation_S3_16rocsparse_order_S4_T4_S5_S5_T3_NS_24const_host_device_scalarIT2_EEPKT5_lPKT6_lS9_PT7_PKS6_SJ_21rocsparse_index_base_b.num_vgpr, 29
	.set _ZN9rocsparseL17sddmm_coox_kernelILi512ELi1ELb0E21rocsparse_complex_numIdEllS2_S2_S2_EEv20rocsparse_operation_S3_16rocsparse_order_S4_T4_S5_S5_T3_NS_24const_host_device_scalarIT2_EEPKT5_lPKT6_lS9_PT7_PKS6_SJ_21rocsparse_index_base_b.num_agpr, 0
	.set _ZN9rocsparseL17sddmm_coox_kernelILi512ELi1ELb0E21rocsparse_complex_numIdEllS2_S2_S2_EEv20rocsparse_operation_S3_16rocsparse_order_S4_T4_S5_S5_T3_NS_24const_host_device_scalarIT2_EEPKT5_lPKT6_lS9_PT7_PKS6_SJ_21rocsparse_index_base_b.numbered_sgpr, 18
	.set _ZN9rocsparseL17sddmm_coox_kernelILi512ELi1ELb0E21rocsparse_complex_numIdEllS2_S2_S2_EEv20rocsparse_operation_S3_16rocsparse_order_S4_T4_S5_S5_T3_NS_24const_host_device_scalarIT2_EEPKT5_lPKT6_lS9_PT7_PKS6_SJ_21rocsparse_index_base_b.num_named_barrier, 0
	.set _ZN9rocsparseL17sddmm_coox_kernelILi512ELi1ELb0E21rocsparse_complex_numIdEllS2_S2_S2_EEv20rocsparse_operation_S3_16rocsparse_order_S4_T4_S5_S5_T3_NS_24const_host_device_scalarIT2_EEPKT5_lPKT6_lS9_PT7_PKS6_SJ_21rocsparse_index_base_b.private_seg_size, 0
	.set _ZN9rocsparseL17sddmm_coox_kernelILi512ELi1ELb0E21rocsparse_complex_numIdEllS2_S2_S2_EEv20rocsparse_operation_S3_16rocsparse_order_S4_T4_S5_S5_T3_NS_24const_host_device_scalarIT2_EEPKT5_lPKT6_lS9_PT7_PKS6_SJ_21rocsparse_index_base_b.uses_vcc, 1
	.set _ZN9rocsparseL17sddmm_coox_kernelILi512ELi1ELb0E21rocsparse_complex_numIdEllS2_S2_S2_EEv20rocsparse_operation_S3_16rocsparse_order_S4_T4_S5_S5_T3_NS_24const_host_device_scalarIT2_EEPKT5_lPKT6_lS9_PT7_PKS6_SJ_21rocsparse_index_base_b.uses_flat_scratch, 0
	.set _ZN9rocsparseL17sddmm_coox_kernelILi512ELi1ELb0E21rocsparse_complex_numIdEllS2_S2_S2_EEv20rocsparse_operation_S3_16rocsparse_order_S4_T4_S5_S5_T3_NS_24const_host_device_scalarIT2_EEPKT5_lPKT6_lS9_PT7_PKS6_SJ_21rocsparse_index_base_b.has_dyn_sized_stack, 0
	.set _ZN9rocsparseL17sddmm_coox_kernelILi512ELi1ELb0E21rocsparse_complex_numIdEllS2_S2_S2_EEv20rocsparse_operation_S3_16rocsparse_order_S4_T4_S5_S5_T3_NS_24const_host_device_scalarIT2_EEPKT5_lPKT6_lS9_PT7_PKS6_SJ_21rocsparse_index_base_b.has_recursion, 0
	.set _ZN9rocsparseL17sddmm_coox_kernelILi512ELi1ELb0E21rocsparse_complex_numIdEllS2_S2_S2_EEv20rocsparse_operation_S3_16rocsparse_order_S4_T4_S5_S5_T3_NS_24const_host_device_scalarIT2_EEPKT5_lPKT6_lS9_PT7_PKS6_SJ_21rocsparse_index_base_b.has_indirect_call, 0
	.section	.AMDGPU.csdata,"",@progbits
; Kernel info:
; codeLenInByte = 1144
; TotalNumSgprs: 20
; NumVgprs: 29
; ScratchSize: 0
; MemoryBound: 0
; FloatMode: 240
; IeeeMode: 1
; LDSByteSize: 8192 bytes/workgroup (compile time only)
; SGPRBlocks: 0
; VGPRBlocks: 3
; NumSGPRsForWavesPerEU: 20
; NumVGPRsForWavesPerEU: 29
; Occupancy: 16
; WaveLimiterHint : 1
; COMPUTE_PGM_RSRC2:SCRATCH_EN: 0
; COMPUTE_PGM_RSRC2:USER_SGPR: 6
; COMPUTE_PGM_RSRC2:TRAP_HANDLER: 0
; COMPUTE_PGM_RSRC2:TGID_X_EN: 1
; COMPUTE_PGM_RSRC2:TGID_Y_EN: 0
; COMPUTE_PGM_RSRC2:TGID_Z_EN: 0
; COMPUTE_PGM_RSRC2:TIDIG_COMP_CNT: 0
	.section	.text._ZN9rocsparseL17sddmm_coox_kernelILi512ELi8ELb0EfiiDF16_DF16_fEEv20rocsparse_operation_S1_16rocsparse_order_S2_T4_S3_S3_T3_NS_24const_host_device_scalarIT2_EEPKT5_lPKT6_lS7_PT7_PKS4_SH_21rocsparse_index_base_b,"axG",@progbits,_ZN9rocsparseL17sddmm_coox_kernelILi512ELi8ELb0EfiiDF16_DF16_fEEv20rocsparse_operation_S1_16rocsparse_order_S2_T4_S3_S3_T3_NS_24const_host_device_scalarIT2_EEPKT5_lPKT6_lS7_PT7_PKS4_SH_21rocsparse_index_base_b,comdat
	.globl	_ZN9rocsparseL17sddmm_coox_kernelILi512ELi8ELb0EfiiDF16_DF16_fEEv20rocsparse_operation_S1_16rocsparse_order_S2_T4_S3_S3_T3_NS_24const_host_device_scalarIT2_EEPKT5_lPKT6_lS7_PT7_PKS4_SH_21rocsparse_index_base_b ; -- Begin function _ZN9rocsparseL17sddmm_coox_kernelILi512ELi8ELb0EfiiDF16_DF16_fEEv20rocsparse_operation_S1_16rocsparse_order_S2_T4_S3_S3_T3_NS_24const_host_device_scalarIT2_EEPKT5_lPKT6_lS7_PT7_PKS4_SH_21rocsparse_index_base_b
	.p2align	8
	.type	_ZN9rocsparseL17sddmm_coox_kernelILi512ELi8ELb0EfiiDF16_DF16_fEEv20rocsparse_operation_S1_16rocsparse_order_S2_T4_S3_S3_T3_NS_24const_host_device_scalarIT2_EEPKT5_lPKT6_lS7_PT7_PKS4_SH_21rocsparse_index_base_b,@function
_ZN9rocsparseL17sddmm_coox_kernelILi512ELi8ELb0EfiiDF16_DF16_fEEv20rocsparse_operation_S1_16rocsparse_order_S2_T4_S3_S3_T3_NS_24const_host_device_scalarIT2_EEPKT5_lPKT6_lS7_PT7_PKS4_SH_21rocsparse_index_base_b: ; @_ZN9rocsparseL17sddmm_coox_kernelILi512ELi8ELb0EfiiDF16_DF16_fEEv20rocsparse_operation_S1_16rocsparse_order_S2_T4_S3_S3_T3_NS_24const_host_device_scalarIT2_EEPKT5_lPKT6_lS7_PT7_PKS4_SH_21rocsparse_index_base_b
; %bb.0:
	s_clause 0x2
	s_load_dwordx2 s[18:19], s[4:5], 0x68
	s_load_dwordx2 s[12:13], s[4:5], 0x20
	s_load_dwordx4 s[0:3], s[4:5], 0x40
	s_waitcnt lgkmcnt(0)
	s_bitcmp1_b32 s19, 0
	s_cselect_b32 s7, -1, 0
	s_and_b32 vcc_lo, exec_lo, s7
	s_xor_b32 s7, s7, -1
	s_cbranch_vccnz .LBB50_2
; %bb.1:
	s_load_dword s12, s[12:13], 0x0
.LBB50_2:
	s_andn2_b32 vcc_lo, exec_lo, s7
	s_cbranch_vccnz .LBB50_4
; %bb.3:
	s_load_dword s2, s[2:3], 0x0
.LBB50_4:
	s_waitcnt lgkmcnt(0)
	v_cmp_eq_f32_e64 s3, s12, 0
	v_cmp_eq_f32_e64 s7, s2, 1.0
	s_and_b32 s3, s3, s7
	s_and_b32 vcc_lo, exec_lo, s3
	s_cbranch_vccnz .LBB50_34
; %bb.5:
	s_load_dwordx2 s[14:15], s[4:5], 0x18
	v_lshrrev_b32_e32 v9, 3, v0
	s_mov_b32 s3, exec_lo
	v_lshl_or_b32 v1, s6, 6, v9
	s_waitcnt lgkmcnt(0)
	v_cmpx_gt_i32_e64 s15, v1
	s_cbranch_execz .LBB50_34
; %bb.6:
	s_load_dwordx4 s[8:11], s[4:5], 0x58
	v_ashrrev_i32_e32 v2, 31, v1
	v_lshlrev_b64 v[1:2], 2, v[1:2]
	s_waitcnt lgkmcnt(0)
	v_add_co_u32 v3, vcc_lo, s8, v1
	v_add_co_ci_u32_e64 v4, null, s9, v2, vcc_lo
	global_load_dword v5, v[3:4], off
	v_add_co_u32 v3, vcc_lo, s10, v1
	v_add_co_ci_u32_e64 v4, null, s11, v2, vcc_lo
	global_load_dword v7, v[3:4], off
	s_clause 0x1
	s_load_dwordx4 s[8:11], s[4:5], 0x0
	s_load_dwordx2 s[16:17], s[4:5], 0x30
	s_waitcnt lgkmcnt(0)
	s_cmp_eq_u32 s10, 1
	s_cselect_b32 s3, -1, 0
	s_cmpk_eq_i32 s8, 0x6f
	s_cselect_b32 s13, -1, 0
	s_cmpk_lg_i32 s8, 0x6f
	s_cselect_b32 s6, -1, 0
	s_cmp_lg_u32 s10, 1
	s_waitcnt vmcnt(1)
	v_subrev_nc_u32_e32 v5, s18, v5
	v_ashrrev_i32_e32 v6, 31, v5
	s_cbranch_scc0 .LBB50_10
; %bb.7:
	v_mov_b32_e32 v3, v5
	v_mov_b32_e32 v4, v6
	s_andn2_b32 vcc_lo, exec_lo, s13
	s_cbranch_vccnz .LBB50_9
; %bb.8:
	v_mul_lo_u32 v8, s17, v5
	v_mul_lo_u32 v10, s16, v6
	v_mad_u64_u32 v[3:4], null, s16, v5, 0
	v_add3_u32 v4, v4, v10, v8
.LBB50_9:
	s_cbranch_execz .LBB50_11
	s_branch .LBB50_14
.LBB50_10:
                                        ; implicit-def: $vgpr3_vgpr4
.LBB50_11:
	s_andn2_b32 vcc_lo, exec_lo, s6
	s_cbranch_vccnz .LBB50_13
; %bb.12:
	v_mul_lo_u32 v3, s17, v5
	v_mul_lo_u32 v4, s16, v6
	v_mad_u64_u32 v[5:6], null, s16, v5, 0
	v_add3_u32 v6, v6, v4, v3
.LBB50_13:
	v_mov_b32_e32 v3, v5
	v_mov_b32_e32 v4, v6
.LBB50_14:
	s_waitcnt vmcnt(0)
	v_subrev_nc_u32_e32 v5, s18, v7
	s_cmp_eq_u32 s11, 1
	s_cselect_b32 s8, -1, 0
	s_cmpk_eq_i32 s9, 0x6f
	v_ashrrev_i32_e32 v6, 31, v5
	s_cselect_b32 s10, -1, 0
	s_cmpk_lg_i32 s9, 0x6f
	s_cselect_b32 s6, -1, 0
	s_cmp_lg_u32 s11, 1
	s_cbranch_scc0 .LBB50_18
; %bb.15:
	v_mov_b32_e32 v8, v6
	v_mov_b32_e32 v7, v5
	s_andn2_b32 vcc_lo, exec_lo, s6
	s_cbranch_vccnz .LBB50_17
; %bb.16:
	v_mul_lo_u32 v10, s1, v5
	v_mul_lo_u32 v11, s0, v6
	v_mad_u64_u32 v[7:8], null, s0, v5, 0
	v_add3_u32 v8, v8, v11, v10
.LBB50_17:
	s_cbranch_execz .LBB50_19
	s_branch .LBB50_22
.LBB50_18:
                                        ; implicit-def: $vgpr7_vgpr8
.LBB50_19:
	s_andn2_b32 vcc_lo, exec_lo, s10
	s_cbranch_vccnz .LBB50_21
; %bb.20:
	v_mul_lo_u32 v7, s1, v5
	v_mul_lo_u32 v8, s0, v6
	v_mad_u64_u32 v[5:6], null, s0, v5, 0
	v_add3_u32 v6, v6, v8, v7
.LBB50_21:
	v_mov_b32_e32 v8, v6
	v_mov_b32_e32 v7, v5
.LBB50_22:
	s_load_dwordx2 s[6:7], s[4:5], 0x50
	v_and_b32_e32 v0, 7, v0
	v_mov_b32_e32 v10, 0
	s_mov_b32 s1, exec_lo
	v_cmpx_gt_i32_e64 s14, v0
	s_cbranch_execz .LBB50_26
; %bb.23:
	s_clause 0x1
	s_load_dwordx2 s[18:19], s[4:5], 0x38
	s_load_dwordx2 s[4:5], s[4:5], 0x28
	s_xor_b32 s3, s13, s3
	v_lshlrev_b64 v[7:8], 1, v[7:8]
	s_and_b32 s3, s3, exec_lo
	v_lshlrev_b64 v[11:12], 1, v[3:4]
	s_cselect_b32 s3, 1, s16
	s_xor_b32 s8, s10, s8
	v_mul_lo_u32 v3, s3, v0
	s_and_b32 s8, s8, exec_lo
	s_cselect_b32 s0, s0, 1
	v_mov_b32_e32 v10, 0
	v_mul_lo_u32 v5, s0, v0
	v_mov_b32_e32 v13, v0
	s_lshl_b32 s0, s0, 3
	s_waitcnt lgkmcnt(0)
	v_add_co_u32 v7, vcc_lo, s18, v7
	v_add_co_ci_u32_e64 v8, null, s19, v8, vcc_lo
	v_add_co_u32 v11, vcc_lo, s4, v11
	v_add_co_ci_u32_e64 v12, null, s5, v12, vcc_lo
	s_lshl_b32 s4, s3, 3
	s_mov_b32 s3, 0
	.p2align	6
.LBB50_24:                              ; =>This Inner Loop Header: Depth=1
	v_ashrrev_i32_e32 v4, 31, v3
	v_ashrrev_i32_e32 v6, 31, v5
	v_add_nc_u32_e32 v13, 8, v13
	v_lshlrev_b64 v[14:15], 1, v[3:4]
	v_lshlrev_b64 v[16:17], 1, v[5:6]
	v_add_nc_u32_e32 v5, s0, v5
	v_add_nc_u32_e32 v3, s4, v3
	v_add_co_u32 v14, vcc_lo, v11, v14
	v_add_co_ci_u32_e64 v15, null, v12, v15, vcc_lo
	v_add_co_u32 v16, vcc_lo, v7, v16
	v_add_co_ci_u32_e64 v17, null, v8, v17, vcc_lo
	global_load_ushort v4, v[14:15], off
	global_load_ushort v6, v[16:17], off
	v_cmp_le_i32_e32 vcc_lo, s14, v13
	s_or_b32 s3, vcc_lo, s3
	s_waitcnt vmcnt(0)
	v_mul_f16_e32 v4, v4, v6
	v_cvt_f32_f16_e32 v4, v4
	v_add_f32_e32 v10, v10, v4
	s_andn2_b32 exec_lo, exec_lo, s3
	s_cbranch_execnz .LBB50_24
; %bb.25:
	s_or_b32 exec_lo, exec_lo, s3
.LBB50_26:
	s_or_b32 exec_lo, exec_lo, s1
	v_lshlrev_b32_e32 v3, 5, v9
	s_mov_b32 s0, exec_lo
	v_lshl_or_b32 v4, v0, 2, v3
	ds_write_b32 v4, v10
	s_waitcnt lgkmcnt(0)
	s_barrier
	buffer_gl0_inv
	v_cmpx_gt_u32_e32 4, v0
	s_cbranch_execz .LBB50_28
; %bb.27:
	ds_read2_b32 v[5:6], v4 offset1:4
	s_waitcnt lgkmcnt(0)
	v_add_f32_e32 v5, v6, v5
	ds_write_b32 v4, v5
.LBB50_28:
	s_or_b32 exec_lo, exec_lo, s0
	s_mov_b32 s0, exec_lo
	s_waitcnt lgkmcnt(0)
	s_barrier
	buffer_gl0_inv
	v_cmpx_gt_u32_e32 2, v0
	s_cbranch_execz .LBB50_30
; %bb.29:
	ds_read2_b32 v[5:6], v4 offset1:2
	s_waitcnt lgkmcnt(0)
	v_add_f32_e32 v5, v6, v5
	ds_write_b32 v4, v5
.LBB50_30:
	s_or_b32 exec_lo, exec_lo, s0
	v_cmp_eq_u32_e32 vcc_lo, 0, v0
	s_waitcnt lgkmcnt(0)
	s_barrier
	buffer_gl0_inv
	s_and_saveexec_b32 s0, vcc_lo
	s_cbranch_execz .LBB50_32
; %bb.31:
	ds_read2_b32 v[5:6], v4 offset1:1
	s_waitcnt lgkmcnt(0)
	v_add_f32_e32 v0, v6, v5
	ds_write_b32 v4, v0
.LBB50_32:
	s_or_b32 exec_lo, exec_lo, s0
	s_waitcnt lgkmcnt(0)
	s_barrier
	buffer_gl0_inv
	s_and_b32 exec_lo, exec_lo, vcc_lo
	s_cbranch_execz .LBB50_34
; %bb.33:
	v_add_co_u32 v0, vcc_lo, s6, v1
	v_add_co_ci_u32_e64 v1, null, s7, v2, vcc_lo
	ds_read_b32 v3, v3
	global_load_dword v2, v[0:1], off
	s_waitcnt lgkmcnt(0)
	v_mul_f32_e32 v3, s12, v3
	s_waitcnt vmcnt(0)
	v_fmac_f32_e32 v3, s2, v2
	global_store_dword v[0:1], v3, off
.LBB50_34:
	s_endpgm
	.section	.rodata,"a",@progbits
	.p2align	6, 0x0
	.amdhsa_kernel _ZN9rocsparseL17sddmm_coox_kernelILi512ELi8ELb0EfiiDF16_DF16_fEEv20rocsparse_operation_S1_16rocsparse_order_S2_T4_S3_S3_T3_NS_24const_host_device_scalarIT2_EEPKT5_lPKT6_lS7_PT7_PKS4_SH_21rocsparse_index_base_b
		.amdhsa_group_segment_fixed_size 2048
		.amdhsa_private_segment_fixed_size 0
		.amdhsa_kernarg_size 112
		.amdhsa_user_sgpr_count 6
		.amdhsa_user_sgpr_private_segment_buffer 1
		.amdhsa_user_sgpr_dispatch_ptr 0
		.amdhsa_user_sgpr_queue_ptr 0
		.amdhsa_user_sgpr_kernarg_segment_ptr 1
		.amdhsa_user_sgpr_dispatch_id 0
		.amdhsa_user_sgpr_flat_scratch_init 0
		.amdhsa_user_sgpr_private_segment_size 0
		.amdhsa_wavefront_size32 1
		.amdhsa_uses_dynamic_stack 0
		.amdhsa_system_sgpr_private_segment_wavefront_offset 0
		.amdhsa_system_sgpr_workgroup_id_x 1
		.amdhsa_system_sgpr_workgroup_id_y 0
		.amdhsa_system_sgpr_workgroup_id_z 0
		.amdhsa_system_sgpr_workgroup_info 0
		.amdhsa_system_vgpr_workitem_id 0
		.amdhsa_next_free_vgpr 18
		.amdhsa_next_free_sgpr 20
		.amdhsa_reserve_vcc 1
		.amdhsa_reserve_flat_scratch 0
		.amdhsa_float_round_mode_32 0
		.amdhsa_float_round_mode_16_64 0
		.amdhsa_float_denorm_mode_32 3
		.amdhsa_float_denorm_mode_16_64 3
		.amdhsa_dx10_clamp 1
		.amdhsa_ieee_mode 1
		.amdhsa_fp16_overflow 0
		.amdhsa_workgroup_processor_mode 1
		.amdhsa_memory_ordered 1
		.amdhsa_forward_progress 1
		.amdhsa_shared_vgpr_count 0
		.amdhsa_exception_fp_ieee_invalid_op 0
		.amdhsa_exception_fp_denorm_src 0
		.amdhsa_exception_fp_ieee_div_zero 0
		.amdhsa_exception_fp_ieee_overflow 0
		.amdhsa_exception_fp_ieee_underflow 0
		.amdhsa_exception_fp_ieee_inexact 0
		.amdhsa_exception_int_div_zero 0
	.end_amdhsa_kernel
	.section	.text._ZN9rocsparseL17sddmm_coox_kernelILi512ELi8ELb0EfiiDF16_DF16_fEEv20rocsparse_operation_S1_16rocsparse_order_S2_T4_S3_S3_T3_NS_24const_host_device_scalarIT2_EEPKT5_lPKT6_lS7_PT7_PKS4_SH_21rocsparse_index_base_b,"axG",@progbits,_ZN9rocsparseL17sddmm_coox_kernelILi512ELi8ELb0EfiiDF16_DF16_fEEv20rocsparse_operation_S1_16rocsparse_order_S2_T4_S3_S3_T3_NS_24const_host_device_scalarIT2_EEPKT5_lPKT6_lS7_PT7_PKS4_SH_21rocsparse_index_base_b,comdat
.Lfunc_end50:
	.size	_ZN9rocsparseL17sddmm_coox_kernelILi512ELi8ELb0EfiiDF16_DF16_fEEv20rocsparse_operation_S1_16rocsparse_order_S2_T4_S3_S3_T3_NS_24const_host_device_scalarIT2_EEPKT5_lPKT6_lS7_PT7_PKS4_SH_21rocsparse_index_base_b, .Lfunc_end50-_ZN9rocsparseL17sddmm_coox_kernelILi512ELi8ELb0EfiiDF16_DF16_fEEv20rocsparse_operation_S1_16rocsparse_order_S2_T4_S3_S3_T3_NS_24const_host_device_scalarIT2_EEPKT5_lPKT6_lS7_PT7_PKS4_SH_21rocsparse_index_base_b
                                        ; -- End function
	.set _ZN9rocsparseL17sddmm_coox_kernelILi512ELi8ELb0EfiiDF16_DF16_fEEv20rocsparse_operation_S1_16rocsparse_order_S2_T4_S3_S3_T3_NS_24const_host_device_scalarIT2_EEPKT5_lPKT6_lS7_PT7_PKS4_SH_21rocsparse_index_base_b.num_vgpr, 18
	.set _ZN9rocsparseL17sddmm_coox_kernelILi512ELi8ELb0EfiiDF16_DF16_fEEv20rocsparse_operation_S1_16rocsparse_order_S2_T4_S3_S3_T3_NS_24const_host_device_scalarIT2_EEPKT5_lPKT6_lS7_PT7_PKS4_SH_21rocsparse_index_base_b.num_agpr, 0
	.set _ZN9rocsparseL17sddmm_coox_kernelILi512ELi8ELb0EfiiDF16_DF16_fEEv20rocsparse_operation_S1_16rocsparse_order_S2_T4_S3_S3_T3_NS_24const_host_device_scalarIT2_EEPKT5_lPKT6_lS7_PT7_PKS4_SH_21rocsparse_index_base_b.numbered_sgpr, 20
	.set _ZN9rocsparseL17sddmm_coox_kernelILi512ELi8ELb0EfiiDF16_DF16_fEEv20rocsparse_operation_S1_16rocsparse_order_S2_T4_S3_S3_T3_NS_24const_host_device_scalarIT2_EEPKT5_lPKT6_lS7_PT7_PKS4_SH_21rocsparse_index_base_b.num_named_barrier, 0
	.set _ZN9rocsparseL17sddmm_coox_kernelILi512ELi8ELb0EfiiDF16_DF16_fEEv20rocsparse_operation_S1_16rocsparse_order_S2_T4_S3_S3_T3_NS_24const_host_device_scalarIT2_EEPKT5_lPKT6_lS7_PT7_PKS4_SH_21rocsparse_index_base_b.private_seg_size, 0
	.set _ZN9rocsparseL17sddmm_coox_kernelILi512ELi8ELb0EfiiDF16_DF16_fEEv20rocsparse_operation_S1_16rocsparse_order_S2_T4_S3_S3_T3_NS_24const_host_device_scalarIT2_EEPKT5_lPKT6_lS7_PT7_PKS4_SH_21rocsparse_index_base_b.uses_vcc, 1
	.set _ZN9rocsparseL17sddmm_coox_kernelILi512ELi8ELb0EfiiDF16_DF16_fEEv20rocsparse_operation_S1_16rocsparse_order_S2_T4_S3_S3_T3_NS_24const_host_device_scalarIT2_EEPKT5_lPKT6_lS7_PT7_PKS4_SH_21rocsparse_index_base_b.uses_flat_scratch, 0
	.set _ZN9rocsparseL17sddmm_coox_kernelILi512ELi8ELb0EfiiDF16_DF16_fEEv20rocsparse_operation_S1_16rocsparse_order_S2_T4_S3_S3_T3_NS_24const_host_device_scalarIT2_EEPKT5_lPKT6_lS7_PT7_PKS4_SH_21rocsparse_index_base_b.has_dyn_sized_stack, 0
	.set _ZN9rocsparseL17sddmm_coox_kernelILi512ELi8ELb0EfiiDF16_DF16_fEEv20rocsparse_operation_S1_16rocsparse_order_S2_T4_S3_S3_T3_NS_24const_host_device_scalarIT2_EEPKT5_lPKT6_lS7_PT7_PKS4_SH_21rocsparse_index_base_b.has_recursion, 0
	.set _ZN9rocsparseL17sddmm_coox_kernelILi512ELi8ELb0EfiiDF16_DF16_fEEv20rocsparse_operation_S1_16rocsparse_order_S2_T4_S3_S3_T3_NS_24const_host_device_scalarIT2_EEPKT5_lPKT6_lS7_PT7_PKS4_SH_21rocsparse_index_base_b.has_indirect_call, 0
	.section	.AMDGPU.csdata,"",@progbits
; Kernel info:
; codeLenInByte = 1100
; TotalNumSgprs: 22
; NumVgprs: 18
; ScratchSize: 0
; MemoryBound: 0
; FloatMode: 240
; IeeeMode: 1
; LDSByteSize: 2048 bytes/workgroup (compile time only)
; SGPRBlocks: 0
; VGPRBlocks: 2
; NumSGPRsForWavesPerEU: 22
; NumVGPRsForWavesPerEU: 18
; Occupancy: 16
; WaveLimiterHint : 0
; COMPUTE_PGM_RSRC2:SCRATCH_EN: 0
; COMPUTE_PGM_RSRC2:USER_SGPR: 6
; COMPUTE_PGM_RSRC2:TRAP_HANDLER: 0
; COMPUTE_PGM_RSRC2:TGID_X_EN: 1
; COMPUTE_PGM_RSRC2:TGID_Y_EN: 0
; COMPUTE_PGM_RSRC2:TGID_Z_EN: 0
; COMPUTE_PGM_RSRC2:TIDIG_COMP_CNT: 0
	.section	.text._ZN9rocsparseL17sddmm_coox_kernelILi512ELi4ELb0EfiiDF16_DF16_fEEv20rocsparse_operation_S1_16rocsparse_order_S2_T4_S3_S3_T3_NS_24const_host_device_scalarIT2_EEPKT5_lPKT6_lS7_PT7_PKS4_SH_21rocsparse_index_base_b,"axG",@progbits,_ZN9rocsparseL17sddmm_coox_kernelILi512ELi4ELb0EfiiDF16_DF16_fEEv20rocsparse_operation_S1_16rocsparse_order_S2_T4_S3_S3_T3_NS_24const_host_device_scalarIT2_EEPKT5_lPKT6_lS7_PT7_PKS4_SH_21rocsparse_index_base_b,comdat
	.globl	_ZN9rocsparseL17sddmm_coox_kernelILi512ELi4ELb0EfiiDF16_DF16_fEEv20rocsparse_operation_S1_16rocsparse_order_S2_T4_S3_S3_T3_NS_24const_host_device_scalarIT2_EEPKT5_lPKT6_lS7_PT7_PKS4_SH_21rocsparse_index_base_b ; -- Begin function _ZN9rocsparseL17sddmm_coox_kernelILi512ELi4ELb0EfiiDF16_DF16_fEEv20rocsparse_operation_S1_16rocsparse_order_S2_T4_S3_S3_T3_NS_24const_host_device_scalarIT2_EEPKT5_lPKT6_lS7_PT7_PKS4_SH_21rocsparse_index_base_b
	.p2align	8
	.type	_ZN9rocsparseL17sddmm_coox_kernelILi512ELi4ELb0EfiiDF16_DF16_fEEv20rocsparse_operation_S1_16rocsparse_order_S2_T4_S3_S3_T3_NS_24const_host_device_scalarIT2_EEPKT5_lPKT6_lS7_PT7_PKS4_SH_21rocsparse_index_base_b,@function
_ZN9rocsparseL17sddmm_coox_kernelILi512ELi4ELb0EfiiDF16_DF16_fEEv20rocsparse_operation_S1_16rocsparse_order_S2_T4_S3_S3_T3_NS_24const_host_device_scalarIT2_EEPKT5_lPKT6_lS7_PT7_PKS4_SH_21rocsparse_index_base_b: ; @_ZN9rocsparseL17sddmm_coox_kernelILi512ELi4ELb0EfiiDF16_DF16_fEEv20rocsparse_operation_S1_16rocsparse_order_S2_T4_S3_S3_T3_NS_24const_host_device_scalarIT2_EEPKT5_lPKT6_lS7_PT7_PKS4_SH_21rocsparse_index_base_b
; %bb.0:
	s_clause 0x2
	s_load_dwordx2 s[16:17], s[4:5], 0x68
	s_load_dwordx2 s[12:13], s[4:5], 0x20
	s_load_dwordx4 s[0:3], s[4:5], 0x40
	s_waitcnt lgkmcnt(0)
	s_bitcmp1_b32 s17, 0
	s_cselect_b32 s7, -1, 0
	s_and_b32 vcc_lo, exec_lo, s7
	s_xor_b32 s7, s7, -1
	s_cbranch_vccnz .LBB51_2
; %bb.1:
	s_load_dword s12, s[12:13], 0x0
.LBB51_2:
	s_andn2_b32 vcc_lo, exec_lo, s7
	s_cbranch_vccnz .LBB51_4
; %bb.3:
	s_load_dword s2, s[2:3], 0x0
.LBB51_4:
	s_waitcnt lgkmcnt(0)
	v_cmp_eq_f32_e64 s3, s12, 0
	v_cmp_eq_f32_e64 s7, s2, 1.0
	s_and_b32 s3, s3, s7
	s_and_b32 vcc_lo, exec_lo, s3
	s_cbranch_vccnz .LBB51_32
; %bb.5:
	s_load_dwordx2 s[14:15], s[4:5], 0x18
	v_lshrrev_b32_e32 v9, 2, v0
	s_mov_b32 s3, exec_lo
	v_lshl_or_b32 v1, s6, 7, v9
	s_waitcnt lgkmcnt(0)
	v_cmpx_gt_i32_e64 s15, v1
	s_cbranch_execz .LBB51_32
; %bb.6:
	s_load_dwordx4 s[8:11], s[4:5], 0x58
	v_ashrrev_i32_e32 v2, 31, v1
	v_lshlrev_b64 v[1:2], 2, v[1:2]
	s_waitcnt lgkmcnt(0)
	v_add_co_u32 v3, vcc_lo, s8, v1
	v_add_co_ci_u32_e64 v4, null, s9, v2, vcc_lo
	global_load_dword v5, v[3:4], off
	v_add_co_u32 v3, vcc_lo, s10, v1
	v_add_co_ci_u32_e64 v4, null, s11, v2, vcc_lo
	global_load_dword v7, v[3:4], off
	s_clause 0x1
	s_load_dwordx4 s[8:11], s[4:5], 0x0
	s_load_dwordx2 s[6:7], s[4:5], 0x30
	s_waitcnt lgkmcnt(0)
	s_cmp_eq_u32 s10, 1
	s_cselect_b32 s3, -1, 0
	s_cmpk_eq_i32 s8, 0x6f
	s_cselect_b32 s13, -1, 0
	s_cmpk_lg_i32 s8, 0x6f
	s_cselect_b32 s8, -1, 0
	s_cmp_lg_u32 s10, 1
	s_waitcnt vmcnt(1)
	v_subrev_nc_u32_e32 v5, s16, v5
	v_ashrrev_i32_e32 v6, 31, v5
	s_cbranch_scc0 .LBB51_10
; %bb.7:
	v_mov_b32_e32 v3, v5
	v_mov_b32_e32 v4, v6
	s_andn2_b32 vcc_lo, exec_lo, s13
	s_cbranch_vccnz .LBB51_9
; %bb.8:
	v_mul_lo_u32 v8, s7, v5
	v_mul_lo_u32 v10, s6, v6
	v_mad_u64_u32 v[3:4], null, s6, v5, 0
	v_add3_u32 v4, v4, v10, v8
.LBB51_9:
	s_cbranch_execz .LBB51_11
	s_branch .LBB51_14
.LBB51_10:
                                        ; implicit-def: $vgpr3_vgpr4
.LBB51_11:
	s_andn2_b32 vcc_lo, exec_lo, s8
	s_cbranch_vccnz .LBB51_13
; %bb.12:
	v_mul_lo_u32 v3, s7, v5
	v_mul_lo_u32 v4, s6, v6
	v_mad_u64_u32 v[5:6], null, s6, v5, 0
	v_add3_u32 v6, v6, v4, v3
.LBB51_13:
	v_mov_b32_e32 v3, v5
	v_mov_b32_e32 v4, v6
.LBB51_14:
	s_waitcnt vmcnt(0)
	v_subrev_nc_u32_e32 v5, s16, v7
	s_cmp_eq_u32 s11, 1
	s_cselect_b32 s7, -1, 0
	s_cmpk_eq_i32 s9, 0x6f
	v_ashrrev_i32_e32 v6, 31, v5
	s_cselect_b32 s10, -1, 0
	s_cmpk_lg_i32 s9, 0x6f
	s_cselect_b32 s8, -1, 0
	s_cmp_lg_u32 s11, 1
	s_cbranch_scc0 .LBB51_18
; %bb.15:
	v_mov_b32_e32 v8, v6
	v_mov_b32_e32 v7, v5
	s_andn2_b32 vcc_lo, exec_lo, s8
	s_cbranch_vccnz .LBB51_17
; %bb.16:
	v_mul_lo_u32 v10, s1, v5
	v_mul_lo_u32 v11, s0, v6
	v_mad_u64_u32 v[7:8], null, s0, v5, 0
	v_add3_u32 v8, v8, v11, v10
.LBB51_17:
	s_cbranch_execz .LBB51_19
	s_branch .LBB51_22
.LBB51_18:
                                        ; implicit-def: $vgpr7_vgpr8
.LBB51_19:
	s_andn2_b32 vcc_lo, exec_lo, s10
	s_cbranch_vccnz .LBB51_21
; %bb.20:
	v_mul_lo_u32 v7, s1, v5
	v_mul_lo_u32 v8, s0, v6
	v_mad_u64_u32 v[5:6], null, s0, v5, 0
	v_add3_u32 v6, v6, v8, v7
.LBB51_21:
	v_mov_b32_e32 v8, v6
	v_mov_b32_e32 v7, v5
.LBB51_22:
	s_load_dwordx2 s[8:9], s[4:5], 0x50
	v_and_b32_e32 v0, 3, v0
	v_mov_b32_e32 v10, 0
	s_mov_b32 s1, exec_lo
	v_cmpx_gt_i32_e64 s14, v0
	s_cbranch_execz .LBB51_26
; %bb.23:
	s_clause 0x1
	s_load_dwordx2 s[16:17], s[4:5], 0x38
	s_load_dwordx2 s[4:5], s[4:5], 0x28
	s_xor_b32 s3, s13, s3
	v_lshlrev_b64 v[7:8], 1, v[7:8]
	s_and_b32 s3, s3, exec_lo
	v_lshlrev_b64 v[11:12], 1, v[3:4]
	s_cselect_b32 s3, 1, s6
	s_xor_b32 s6, s10, s7
	v_mul_lo_u32 v3, s3, v0
	s_and_b32 s6, s6, exec_lo
	s_cselect_b32 s0, s0, 1
	v_mov_b32_e32 v10, 0
	v_mul_lo_u32 v5, s0, v0
	v_mov_b32_e32 v13, v0
	s_lshl_b32 s0, s0, 2
	s_waitcnt lgkmcnt(0)
	v_add_co_u32 v7, vcc_lo, s16, v7
	v_add_co_ci_u32_e64 v8, null, s17, v8, vcc_lo
	v_add_co_u32 v11, vcc_lo, s4, v11
	v_add_co_ci_u32_e64 v12, null, s5, v12, vcc_lo
	s_lshl_b32 s4, s3, 2
	s_mov_b32 s3, 0
	.p2align	6
.LBB51_24:                              ; =>This Inner Loop Header: Depth=1
	v_ashrrev_i32_e32 v4, 31, v3
	v_ashrrev_i32_e32 v6, 31, v5
	v_add_nc_u32_e32 v13, 4, v13
	v_lshlrev_b64 v[14:15], 1, v[3:4]
	v_lshlrev_b64 v[16:17], 1, v[5:6]
	v_add_nc_u32_e32 v5, s0, v5
	v_add_nc_u32_e32 v3, s4, v3
	v_add_co_u32 v14, vcc_lo, v11, v14
	v_add_co_ci_u32_e64 v15, null, v12, v15, vcc_lo
	v_add_co_u32 v16, vcc_lo, v7, v16
	v_add_co_ci_u32_e64 v17, null, v8, v17, vcc_lo
	global_load_ushort v4, v[14:15], off
	global_load_ushort v6, v[16:17], off
	v_cmp_le_i32_e32 vcc_lo, s14, v13
	s_or_b32 s3, vcc_lo, s3
	s_waitcnt vmcnt(0)
	v_mul_f16_e32 v4, v4, v6
	v_cvt_f32_f16_e32 v4, v4
	v_add_f32_e32 v10, v10, v4
	s_andn2_b32 exec_lo, exec_lo, s3
	s_cbranch_execnz .LBB51_24
; %bb.25:
	s_or_b32 exec_lo, exec_lo, s3
.LBB51_26:
	s_or_b32 exec_lo, exec_lo, s1
	v_lshlrev_b32_e32 v3, 4, v9
	s_mov_b32 s0, exec_lo
	v_lshl_or_b32 v4, v0, 2, v3
	ds_write_b32 v4, v10
	s_waitcnt lgkmcnt(0)
	s_barrier
	buffer_gl0_inv
	v_cmpx_gt_u32_e32 2, v0
	s_cbranch_execz .LBB51_28
; %bb.27:
	ds_read2_b32 v[5:6], v4 offset1:2
	s_waitcnt lgkmcnt(0)
	v_add_f32_e32 v5, v6, v5
	ds_write_b32 v4, v5
.LBB51_28:
	s_or_b32 exec_lo, exec_lo, s0
	v_cmp_eq_u32_e32 vcc_lo, 0, v0
	s_waitcnt lgkmcnt(0)
	s_barrier
	buffer_gl0_inv
	s_and_saveexec_b32 s0, vcc_lo
	s_cbranch_execz .LBB51_30
; %bb.29:
	ds_read2_b32 v[5:6], v4 offset1:1
	s_waitcnt lgkmcnt(0)
	v_add_f32_e32 v0, v6, v5
	ds_write_b32 v4, v0
.LBB51_30:
	s_or_b32 exec_lo, exec_lo, s0
	s_waitcnt lgkmcnt(0)
	s_barrier
	buffer_gl0_inv
	s_and_b32 exec_lo, exec_lo, vcc_lo
	s_cbranch_execz .LBB51_32
; %bb.31:
	v_add_co_u32 v0, vcc_lo, s8, v1
	v_add_co_ci_u32_e64 v1, null, s9, v2, vcc_lo
	ds_read_b32 v3, v3
	global_load_dword v2, v[0:1], off
	s_waitcnt lgkmcnt(0)
	v_mul_f32_e32 v3, s12, v3
	s_waitcnt vmcnt(0)
	v_fmac_f32_e32 v3, s2, v2
	global_store_dword v[0:1], v3, off
.LBB51_32:
	s_endpgm
	.section	.rodata,"a",@progbits
	.p2align	6, 0x0
	.amdhsa_kernel _ZN9rocsparseL17sddmm_coox_kernelILi512ELi4ELb0EfiiDF16_DF16_fEEv20rocsparse_operation_S1_16rocsparse_order_S2_T4_S3_S3_T3_NS_24const_host_device_scalarIT2_EEPKT5_lPKT6_lS7_PT7_PKS4_SH_21rocsparse_index_base_b
		.amdhsa_group_segment_fixed_size 2048
		.amdhsa_private_segment_fixed_size 0
		.amdhsa_kernarg_size 112
		.amdhsa_user_sgpr_count 6
		.amdhsa_user_sgpr_private_segment_buffer 1
		.amdhsa_user_sgpr_dispatch_ptr 0
		.amdhsa_user_sgpr_queue_ptr 0
		.amdhsa_user_sgpr_kernarg_segment_ptr 1
		.amdhsa_user_sgpr_dispatch_id 0
		.amdhsa_user_sgpr_flat_scratch_init 0
		.amdhsa_user_sgpr_private_segment_size 0
		.amdhsa_wavefront_size32 1
		.amdhsa_uses_dynamic_stack 0
		.amdhsa_system_sgpr_private_segment_wavefront_offset 0
		.amdhsa_system_sgpr_workgroup_id_x 1
		.amdhsa_system_sgpr_workgroup_id_y 0
		.amdhsa_system_sgpr_workgroup_id_z 0
		.amdhsa_system_sgpr_workgroup_info 0
		.amdhsa_system_vgpr_workitem_id 0
		.amdhsa_next_free_vgpr 18
		.amdhsa_next_free_sgpr 18
		.amdhsa_reserve_vcc 1
		.amdhsa_reserve_flat_scratch 0
		.amdhsa_float_round_mode_32 0
		.amdhsa_float_round_mode_16_64 0
		.amdhsa_float_denorm_mode_32 3
		.amdhsa_float_denorm_mode_16_64 3
		.amdhsa_dx10_clamp 1
		.amdhsa_ieee_mode 1
		.amdhsa_fp16_overflow 0
		.amdhsa_workgroup_processor_mode 1
		.amdhsa_memory_ordered 1
		.amdhsa_forward_progress 1
		.amdhsa_shared_vgpr_count 0
		.amdhsa_exception_fp_ieee_invalid_op 0
		.amdhsa_exception_fp_denorm_src 0
		.amdhsa_exception_fp_ieee_div_zero 0
		.amdhsa_exception_fp_ieee_overflow 0
		.amdhsa_exception_fp_ieee_underflow 0
		.amdhsa_exception_fp_ieee_inexact 0
		.amdhsa_exception_int_div_zero 0
	.end_amdhsa_kernel
	.section	.text._ZN9rocsparseL17sddmm_coox_kernelILi512ELi4ELb0EfiiDF16_DF16_fEEv20rocsparse_operation_S1_16rocsparse_order_S2_T4_S3_S3_T3_NS_24const_host_device_scalarIT2_EEPKT5_lPKT6_lS7_PT7_PKS4_SH_21rocsparse_index_base_b,"axG",@progbits,_ZN9rocsparseL17sddmm_coox_kernelILi512ELi4ELb0EfiiDF16_DF16_fEEv20rocsparse_operation_S1_16rocsparse_order_S2_T4_S3_S3_T3_NS_24const_host_device_scalarIT2_EEPKT5_lPKT6_lS7_PT7_PKS4_SH_21rocsparse_index_base_b,comdat
.Lfunc_end51:
	.size	_ZN9rocsparseL17sddmm_coox_kernelILi512ELi4ELb0EfiiDF16_DF16_fEEv20rocsparse_operation_S1_16rocsparse_order_S2_T4_S3_S3_T3_NS_24const_host_device_scalarIT2_EEPKT5_lPKT6_lS7_PT7_PKS4_SH_21rocsparse_index_base_b, .Lfunc_end51-_ZN9rocsparseL17sddmm_coox_kernelILi512ELi4ELb0EfiiDF16_DF16_fEEv20rocsparse_operation_S1_16rocsparse_order_S2_T4_S3_S3_T3_NS_24const_host_device_scalarIT2_EEPKT5_lPKT6_lS7_PT7_PKS4_SH_21rocsparse_index_base_b
                                        ; -- End function
	.set _ZN9rocsparseL17sddmm_coox_kernelILi512ELi4ELb0EfiiDF16_DF16_fEEv20rocsparse_operation_S1_16rocsparse_order_S2_T4_S3_S3_T3_NS_24const_host_device_scalarIT2_EEPKT5_lPKT6_lS7_PT7_PKS4_SH_21rocsparse_index_base_b.num_vgpr, 18
	.set _ZN9rocsparseL17sddmm_coox_kernelILi512ELi4ELb0EfiiDF16_DF16_fEEv20rocsparse_operation_S1_16rocsparse_order_S2_T4_S3_S3_T3_NS_24const_host_device_scalarIT2_EEPKT5_lPKT6_lS7_PT7_PKS4_SH_21rocsparse_index_base_b.num_agpr, 0
	.set _ZN9rocsparseL17sddmm_coox_kernelILi512ELi4ELb0EfiiDF16_DF16_fEEv20rocsparse_operation_S1_16rocsparse_order_S2_T4_S3_S3_T3_NS_24const_host_device_scalarIT2_EEPKT5_lPKT6_lS7_PT7_PKS4_SH_21rocsparse_index_base_b.numbered_sgpr, 18
	.set _ZN9rocsparseL17sddmm_coox_kernelILi512ELi4ELb0EfiiDF16_DF16_fEEv20rocsparse_operation_S1_16rocsparse_order_S2_T4_S3_S3_T3_NS_24const_host_device_scalarIT2_EEPKT5_lPKT6_lS7_PT7_PKS4_SH_21rocsparse_index_base_b.num_named_barrier, 0
	.set _ZN9rocsparseL17sddmm_coox_kernelILi512ELi4ELb0EfiiDF16_DF16_fEEv20rocsparse_operation_S1_16rocsparse_order_S2_T4_S3_S3_T3_NS_24const_host_device_scalarIT2_EEPKT5_lPKT6_lS7_PT7_PKS4_SH_21rocsparse_index_base_b.private_seg_size, 0
	.set _ZN9rocsparseL17sddmm_coox_kernelILi512ELi4ELb0EfiiDF16_DF16_fEEv20rocsparse_operation_S1_16rocsparse_order_S2_T4_S3_S3_T3_NS_24const_host_device_scalarIT2_EEPKT5_lPKT6_lS7_PT7_PKS4_SH_21rocsparse_index_base_b.uses_vcc, 1
	.set _ZN9rocsparseL17sddmm_coox_kernelILi512ELi4ELb0EfiiDF16_DF16_fEEv20rocsparse_operation_S1_16rocsparse_order_S2_T4_S3_S3_T3_NS_24const_host_device_scalarIT2_EEPKT5_lPKT6_lS7_PT7_PKS4_SH_21rocsparse_index_base_b.uses_flat_scratch, 0
	.set _ZN9rocsparseL17sddmm_coox_kernelILi512ELi4ELb0EfiiDF16_DF16_fEEv20rocsparse_operation_S1_16rocsparse_order_S2_T4_S3_S3_T3_NS_24const_host_device_scalarIT2_EEPKT5_lPKT6_lS7_PT7_PKS4_SH_21rocsparse_index_base_b.has_dyn_sized_stack, 0
	.set _ZN9rocsparseL17sddmm_coox_kernelILi512ELi4ELb0EfiiDF16_DF16_fEEv20rocsparse_operation_S1_16rocsparse_order_S2_T4_S3_S3_T3_NS_24const_host_device_scalarIT2_EEPKT5_lPKT6_lS7_PT7_PKS4_SH_21rocsparse_index_base_b.has_recursion, 0
	.set _ZN9rocsparseL17sddmm_coox_kernelILi512ELi4ELb0EfiiDF16_DF16_fEEv20rocsparse_operation_S1_16rocsparse_order_S2_T4_S3_S3_T3_NS_24const_host_device_scalarIT2_EEPKT5_lPKT6_lS7_PT7_PKS4_SH_21rocsparse_index_base_b.has_indirect_call, 0
	.section	.AMDGPU.csdata,"",@progbits
; Kernel info:
; codeLenInByte = 1044
; TotalNumSgprs: 20
; NumVgprs: 18
; ScratchSize: 0
; MemoryBound: 0
; FloatMode: 240
; IeeeMode: 1
; LDSByteSize: 2048 bytes/workgroup (compile time only)
; SGPRBlocks: 0
; VGPRBlocks: 2
; NumSGPRsForWavesPerEU: 20
; NumVGPRsForWavesPerEU: 18
; Occupancy: 16
; WaveLimiterHint : 0
; COMPUTE_PGM_RSRC2:SCRATCH_EN: 0
; COMPUTE_PGM_RSRC2:USER_SGPR: 6
; COMPUTE_PGM_RSRC2:TRAP_HANDLER: 0
; COMPUTE_PGM_RSRC2:TGID_X_EN: 1
; COMPUTE_PGM_RSRC2:TGID_Y_EN: 0
; COMPUTE_PGM_RSRC2:TGID_Z_EN: 0
; COMPUTE_PGM_RSRC2:TIDIG_COMP_CNT: 0
	.section	.text._ZN9rocsparseL17sddmm_coox_kernelILi512ELi2ELb0EfiiDF16_DF16_fEEv20rocsparse_operation_S1_16rocsparse_order_S2_T4_S3_S3_T3_NS_24const_host_device_scalarIT2_EEPKT5_lPKT6_lS7_PT7_PKS4_SH_21rocsparse_index_base_b,"axG",@progbits,_ZN9rocsparseL17sddmm_coox_kernelILi512ELi2ELb0EfiiDF16_DF16_fEEv20rocsparse_operation_S1_16rocsparse_order_S2_T4_S3_S3_T3_NS_24const_host_device_scalarIT2_EEPKT5_lPKT6_lS7_PT7_PKS4_SH_21rocsparse_index_base_b,comdat
	.globl	_ZN9rocsparseL17sddmm_coox_kernelILi512ELi2ELb0EfiiDF16_DF16_fEEv20rocsparse_operation_S1_16rocsparse_order_S2_T4_S3_S3_T3_NS_24const_host_device_scalarIT2_EEPKT5_lPKT6_lS7_PT7_PKS4_SH_21rocsparse_index_base_b ; -- Begin function _ZN9rocsparseL17sddmm_coox_kernelILi512ELi2ELb0EfiiDF16_DF16_fEEv20rocsparse_operation_S1_16rocsparse_order_S2_T4_S3_S3_T3_NS_24const_host_device_scalarIT2_EEPKT5_lPKT6_lS7_PT7_PKS4_SH_21rocsparse_index_base_b
	.p2align	8
	.type	_ZN9rocsparseL17sddmm_coox_kernelILi512ELi2ELb0EfiiDF16_DF16_fEEv20rocsparse_operation_S1_16rocsparse_order_S2_T4_S3_S3_T3_NS_24const_host_device_scalarIT2_EEPKT5_lPKT6_lS7_PT7_PKS4_SH_21rocsparse_index_base_b,@function
_ZN9rocsparseL17sddmm_coox_kernelILi512ELi2ELb0EfiiDF16_DF16_fEEv20rocsparse_operation_S1_16rocsparse_order_S2_T4_S3_S3_T3_NS_24const_host_device_scalarIT2_EEPKT5_lPKT6_lS7_PT7_PKS4_SH_21rocsparse_index_base_b: ; @_ZN9rocsparseL17sddmm_coox_kernelILi512ELi2ELb0EfiiDF16_DF16_fEEv20rocsparse_operation_S1_16rocsparse_order_S2_T4_S3_S3_T3_NS_24const_host_device_scalarIT2_EEPKT5_lPKT6_lS7_PT7_PKS4_SH_21rocsparse_index_base_b
; %bb.0:
	s_clause 0x2
	s_load_dwordx2 s[16:17], s[4:5], 0x68
	s_load_dwordx2 s[12:13], s[4:5], 0x20
	s_load_dwordx4 s[0:3], s[4:5], 0x40
	s_waitcnt lgkmcnt(0)
	s_bitcmp1_b32 s17, 0
	s_cselect_b32 s7, -1, 0
	s_and_b32 vcc_lo, exec_lo, s7
	s_xor_b32 s7, s7, -1
	s_cbranch_vccnz .LBB52_2
; %bb.1:
	s_load_dword s12, s[12:13], 0x0
.LBB52_2:
	s_andn2_b32 vcc_lo, exec_lo, s7
	s_cbranch_vccnz .LBB52_4
; %bb.3:
	s_load_dword s2, s[2:3], 0x0
.LBB52_4:
	s_waitcnt lgkmcnt(0)
	v_cmp_eq_f32_e64 s3, s12, 0
	v_cmp_eq_f32_e64 s7, s2, 1.0
	s_and_b32 s3, s3, s7
	s_and_b32 vcc_lo, exec_lo, s3
	s_cbranch_vccnz .LBB52_30
; %bb.5:
	s_load_dwordx2 s[14:15], s[4:5], 0x18
	v_lshrrev_b32_e32 v9, 1, v0
	s_mov_b32 s3, exec_lo
	v_lshl_or_b32 v1, s6, 8, v9
	s_waitcnt lgkmcnt(0)
	v_cmpx_gt_i32_e64 s15, v1
	s_cbranch_execz .LBB52_30
; %bb.6:
	s_load_dwordx4 s[8:11], s[4:5], 0x58
	v_ashrrev_i32_e32 v2, 31, v1
	v_lshlrev_b64 v[1:2], 2, v[1:2]
	s_waitcnt lgkmcnt(0)
	v_add_co_u32 v3, vcc_lo, s8, v1
	v_add_co_ci_u32_e64 v4, null, s9, v2, vcc_lo
	global_load_dword v5, v[3:4], off
	v_add_co_u32 v3, vcc_lo, s10, v1
	v_add_co_ci_u32_e64 v4, null, s11, v2, vcc_lo
	global_load_dword v7, v[3:4], off
	s_clause 0x1
	s_load_dwordx4 s[8:11], s[4:5], 0x0
	s_load_dwordx2 s[6:7], s[4:5], 0x30
	s_waitcnt lgkmcnt(0)
	s_cmp_eq_u32 s10, 1
	s_cselect_b32 s3, -1, 0
	s_cmpk_eq_i32 s8, 0x6f
	s_cselect_b32 s13, -1, 0
	s_cmpk_lg_i32 s8, 0x6f
	s_cselect_b32 s8, -1, 0
	s_cmp_lg_u32 s10, 1
	s_waitcnt vmcnt(1)
	v_subrev_nc_u32_e32 v5, s16, v5
	v_ashrrev_i32_e32 v6, 31, v5
	s_cbranch_scc0 .LBB52_10
; %bb.7:
	v_mov_b32_e32 v3, v5
	v_mov_b32_e32 v4, v6
	s_andn2_b32 vcc_lo, exec_lo, s13
	s_cbranch_vccnz .LBB52_9
; %bb.8:
	v_mul_lo_u32 v8, s7, v5
	v_mul_lo_u32 v10, s6, v6
	v_mad_u64_u32 v[3:4], null, s6, v5, 0
	v_add3_u32 v4, v4, v10, v8
.LBB52_9:
	s_cbranch_execz .LBB52_11
	s_branch .LBB52_14
.LBB52_10:
                                        ; implicit-def: $vgpr3_vgpr4
.LBB52_11:
	s_andn2_b32 vcc_lo, exec_lo, s8
	s_cbranch_vccnz .LBB52_13
; %bb.12:
	v_mul_lo_u32 v3, s7, v5
	v_mul_lo_u32 v4, s6, v6
	v_mad_u64_u32 v[5:6], null, s6, v5, 0
	v_add3_u32 v6, v6, v4, v3
.LBB52_13:
	v_mov_b32_e32 v3, v5
	v_mov_b32_e32 v4, v6
.LBB52_14:
	s_waitcnt vmcnt(0)
	v_subrev_nc_u32_e32 v5, s16, v7
	s_cmp_eq_u32 s11, 1
	s_cselect_b32 s7, -1, 0
	s_cmpk_eq_i32 s9, 0x6f
	v_ashrrev_i32_e32 v6, 31, v5
	s_cselect_b32 s10, -1, 0
	s_cmpk_lg_i32 s9, 0x6f
	s_cselect_b32 s8, -1, 0
	s_cmp_lg_u32 s11, 1
	s_cbranch_scc0 .LBB52_18
; %bb.15:
	v_mov_b32_e32 v8, v6
	v_mov_b32_e32 v7, v5
	s_andn2_b32 vcc_lo, exec_lo, s8
	s_cbranch_vccnz .LBB52_17
; %bb.16:
	v_mul_lo_u32 v10, s1, v5
	v_mul_lo_u32 v11, s0, v6
	v_mad_u64_u32 v[7:8], null, s0, v5, 0
	v_add3_u32 v8, v8, v11, v10
.LBB52_17:
	s_cbranch_execz .LBB52_19
	s_branch .LBB52_22
.LBB52_18:
                                        ; implicit-def: $vgpr7_vgpr8
.LBB52_19:
	s_andn2_b32 vcc_lo, exec_lo, s10
	s_cbranch_vccnz .LBB52_21
; %bb.20:
	v_mul_lo_u32 v7, s1, v5
	v_mul_lo_u32 v8, s0, v6
	v_mad_u64_u32 v[5:6], null, s0, v5, 0
	v_add3_u32 v6, v6, v8, v7
.LBB52_21:
	v_mov_b32_e32 v8, v6
	v_mov_b32_e32 v7, v5
.LBB52_22:
	s_load_dwordx2 s[8:9], s[4:5], 0x50
	v_and_b32_e32 v0, 1, v0
	v_mov_b32_e32 v10, 0
	s_mov_b32 s1, exec_lo
	v_cmpx_gt_i32_e64 s14, v0
	s_cbranch_execz .LBB52_26
; %bb.23:
	s_clause 0x1
	s_load_dwordx2 s[16:17], s[4:5], 0x38
	s_load_dwordx2 s[4:5], s[4:5], 0x28
	s_xor_b32 s3, s13, s3
	v_lshlrev_b64 v[7:8], 1, v[7:8]
	s_and_b32 s3, s3, exec_lo
	v_lshlrev_b64 v[11:12], 1, v[3:4]
	s_cselect_b32 s3, 1, s6
	s_xor_b32 s6, s10, s7
	v_mul_lo_u32 v3, s3, v0
	s_and_b32 s6, s6, exec_lo
	s_cselect_b32 s0, s0, 1
	v_mov_b32_e32 v10, 0
	v_mul_lo_u32 v5, s0, v0
	v_mov_b32_e32 v13, v0
	s_lshl_b32 s0, s0, 1
	s_waitcnt lgkmcnt(0)
	v_add_co_u32 v7, vcc_lo, s16, v7
	v_add_co_ci_u32_e64 v8, null, s17, v8, vcc_lo
	v_add_co_u32 v11, vcc_lo, s4, v11
	v_add_co_ci_u32_e64 v12, null, s5, v12, vcc_lo
	s_lshl_b32 s4, s3, 1
	s_mov_b32 s3, 0
	.p2align	6
.LBB52_24:                              ; =>This Inner Loop Header: Depth=1
	v_ashrrev_i32_e32 v4, 31, v3
	v_ashrrev_i32_e32 v6, 31, v5
	v_add_nc_u32_e32 v13, 2, v13
	v_lshlrev_b64 v[14:15], 1, v[3:4]
	v_lshlrev_b64 v[16:17], 1, v[5:6]
	v_add_nc_u32_e32 v5, s0, v5
	v_add_nc_u32_e32 v3, s4, v3
	v_add_co_u32 v14, vcc_lo, v11, v14
	v_add_co_ci_u32_e64 v15, null, v12, v15, vcc_lo
	v_add_co_u32 v16, vcc_lo, v7, v16
	v_add_co_ci_u32_e64 v17, null, v8, v17, vcc_lo
	global_load_ushort v4, v[14:15], off
	global_load_ushort v6, v[16:17], off
	v_cmp_le_i32_e32 vcc_lo, s14, v13
	s_or_b32 s3, vcc_lo, s3
	s_waitcnt vmcnt(0)
	v_mul_f16_e32 v4, v4, v6
	v_cvt_f32_f16_e32 v4, v4
	v_add_f32_e32 v10, v10, v4
	s_andn2_b32 exec_lo, exec_lo, s3
	s_cbranch_execnz .LBB52_24
; %bb.25:
	s_or_b32 exec_lo, exec_lo, s3
.LBB52_26:
	s_or_b32 exec_lo, exec_lo, s1
	v_lshlrev_b32_e32 v3, 3, v9
	v_cmp_eq_u32_e32 vcc_lo, 0, v0
	v_lshl_or_b32 v4, v0, 2, v3
	ds_write_b32 v4, v10
	s_waitcnt lgkmcnt(0)
	s_barrier
	buffer_gl0_inv
	s_and_saveexec_b32 s0, vcc_lo
	s_cbranch_execz .LBB52_28
; %bb.27:
	ds_read_b32 v0, v3 offset:4
	ds_read_b32 v5, v4
	s_waitcnt lgkmcnt(0)
	v_add_f32_e32 v0, v0, v5
	ds_write_b32 v4, v0
.LBB52_28:
	s_or_b32 exec_lo, exec_lo, s0
	s_waitcnt lgkmcnt(0)
	s_barrier
	buffer_gl0_inv
	s_and_b32 exec_lo, exec_lo, vcc_lo
	s_cbranch_execz .LBB52_30
; %bb.29:
	v_add_co_u32 v0, vcc_lo, s8, v1
	v_add_co_ci_u32_e64 v1, null, s9, v2, vcc_lo
	ds_read_b32 v3, v3
	global_load_dword v2, v[0:1], off
	s_waitcnt lgkmcnt(0)
	v_mul_f32_e32 v3, s12, v3
	s_waitcnt vmcnt(0)
	v_fmac_f32_e32 v3, s2, v2
	global_store_dword v[0:1], v3, off
.LBB52_30:
	s_endpgm
	.section	.rodata,"a",@progbits
	.p2align	6, 0x0
	.amdhsa_kernel _ZN9rocsparseL17sddmm_coox_kernelILi512ELi2ELb0EfiiDF16_DF16_fEEv20rocsparse_operation_S1_16rocsparse_order_S2_T4_S3_S3_T3_NS_24const_host_device_scalarIT2_EEPKT5_lPKT6_lS7_PT7_PKS4_SH_21rocsparse_index_base_b
		.amdhsa_group_segment_fixed_size 2048
		.amdhsa_private_segment_fixed_size 0
		.amdhsa_kernarg_size 112
		.amdhsa_user_sgpr_count 6
		.amdhsa_user_sgpr_private_segment_buffer 1
		.amdhsa_user_sgpr_dispatch_ptr 0
		.amdhsa_user_sgpr_queue_ptr 0
		.amdhsa_user_sgpr_kernarg_segment_ptr 1
		.amdhsa_user_sgpr_dispatch_id 0
		.amdhsa_user_sgpr_flat_scratch_init 0
		.amdhsa_user_sgpr_private_segment_size 0
		.amdhsa_wavefront_size32 1
		.amdhsa_uses_dynamic_stack 0
		.amdhsa_system_sgpr_private_segment_wavefront_offset 0
		.amdhsa_system_sgpr_workgroup_id_x 1
		.amdhsa_system_sgpr_workgroup_id_y 0
		.amdhsa_system_sgpr_workgroup_id_z 0
		.amdhsa_system_sgpr_workgroup_info 0
		.amdhsa_system_vgpr_workitem_id 0
		.amdhsa_next_free_vgpr 18
		.amdhsa_next_free_sgpr 18
		.amdhsa_reserve_vcc 1
		.amdhsa_reserve_flat_scratch 0
		.amdhsa_float_round_mode_32 0
		.amdhsa_float_round_mode_16_64 0
		.amdhsa_float_denorm_mode_32 3
		.amdhsa_float_denorm_mode_16_64 3
		.amdhsa_dx10_clamp 1
		.amdhsa_ieee_mode 1
		.amdhsa_fp16_overflow 0
		.amdhsa_workgroup_processor_mode 1
		.amdhsa_memory_ordered 1
		.amdhsa_forward_progress 1
		.amdhsa_shared_vgpr_count 0
		.amdhsa_exception_fp_ieee_invalid_op 0
		.amdhsa_exception_fp_denorm_src 0
		.amdhsa_exception_fp_ieee_div_zero 0
		.amdhsa_exception_fp_ieee_overflow 0
		.amdhsa_exception_fp_ieee_underflow 0
		.amdhsa_exception_fp_ieee_inexact 0
		.amdhsa_exception_int_div_zero 0
	.end_amdhsa_kernel
	.section	.text._ZN9rocsparseL17sddmm_coox_kernelILi512ELi2ELb0EfiiDF16_DF16_fEEv20rocsparse_operation_S1_16rocsparse_order_S2_T4_S3_S3_T3_NS_24const_host_device_scalarIT2_EEPKT5_lPKT6_lS7_PT7_PKS4_SH_21rocsparse_index_base_b,"axG",@progbits,_ZN9rocsparseL17sddmm_coox_kernelILi512ELi2ELb0EfiiDF16_DF16_fEEv20rocsparse_operation_S1_16rocsparse_order_S2_T4_S3_S3_T3_NS_24const_host_device_scalarIT2_EEPKT5_lPKT6_lS7_PT7_PKS4_SH_21rocsparse_index_base_b,comdat
.Lfunc_end52:
	.size	_ZN9rocsparseL17sddmm_coox_kernelILi512ELi2ELb0EfiiDF16_DF16_fEEv20rocsparse_operation_S1_16rocsparse_order_S2_T4_S3_S3_T3_NS_24const_host_device_scalarIT2_EEPKT5_lPKT6_lS7_PT7_PKS4_SH_21rocsparse_index_base_b, .Lfunc_end52-_ZN9rocsparseL17sddmm_coox_kernelILi512ELi2ELb0EfiiDF16_DF16_fEEv20rocsparse_operation_S1_16rocsparse_order_S2_T4_S3_S3_T3_NS_24const_host_device_scalarIT2_EEPKT5_lPKT6_lS7_PT7_PKS4_SH_21rocsparse_index_base_b
                                        ; -- End function
	.set _ZN9rocsparseL17sddmm_coox_kernelILi512ELi2ELb0EfiiDF16_DF16_fEEv20rocsparse_operation_S1_16rocsparse_order_S2_T4_S3_S3_T3_NS_24const_host_device_scalarIT2_EEPKT5_lPKT6_lS7_PT7_PKS4_SH_21rocsparse_index_base_b.num_vgpr, 18
	.set _ZN9rocsparseL17sddmm_coox_kernelILi512ELi2ELb0EfiiDF16_DF16_fEEv20rocsparse_operation_S1_16rocsparse_order_S2_T4_S3_S3_T3_NS_24const_host_device_scalarIT2_EEPKT5_lPKT6_lS7_PT7_PKS4_SH_21rocsparse_index_base_b.num_agpr, 0
	.set _ZN9rocsparseL17sddmm_coox_kernelILi512ELi2ELb0EfiiDF16_DF16_fEEv20rocsparse_operation_S1_16rocsparse_order_S2_T4_S3_S3_T3_NS_24const_host_device_scalarIT2_EEPKT5_lPKT6_lS7_PT7_PKS4_SH_21rocsparse_index_base_b.numbered_sgpr, 18
	.set _ZN9rocsparseL17sddmm_coox_kernelILi512ELi2ELb0EfiiDF16_DF16_fEEv20rocsparse_operation_S1_16rocsparse_order_S2_T4_S3_S3_T3_NS_24const_host_device_scalarIT2_EEPKT5_lPKT6_lS7_PT7_PKS4_SH_21rocsparse_index_base_b.num_named_barrier, 0
	.set _ZN9rocsparseL17sddmm_coox_kernelILi512ELi2ELb0EfiiDF16_DF16_fEEv20rocsparse_operation_S1_16rocsparse_order_S2_T4_S3_S3_T3_NS_24const_host_device_scalarIT2_EEPKT5_lPKT6_lS7_PT7_PKS4_SH_21rocsparse_index_base_b.private_seg_size, 0
	.set _ZN9rocsparseL17sddmm_coox_kernelILi512ELi2ELb0EfiiDF16_DF16_fEEv20rocsparse_operation_S1_16rocsparse_order_S2_T4_S3_S3_T3_NS_24const_host_device_scalarIT2_EEPKT5_lPKT6_lS7_PT7_PKS4_SH_21rocsparse_index_base_b.uses_vcc, 1
	.set _ZN9rocsparseL17sddmm_coox_kernelILi512ELi2ELb0EfiiDF16_DF16_fEEv20rocsparse_operation_S1_16rocsparse_order_S2_T4_S3_S3_T3_NS_24const_host_device_scalarIT2_EEPKT5_lPKT6_lS7_PT7_PKS4_SH_21rocsparse_index_base_b.uses_flat_scratch, 0
	.set _ZN9rocsparseL17sddmm_coox_kernelILi512ELi2ELb0EfiiDF16_DF16_fEEv20rocsparse_operation_S1_16rocsparse_order_S2_T4_S3_S3_T3_NS_24const_host_device_scalarIT2_EEPKT5_lPKT6_lS7_PT7_PKS4_SH_21rocsparse_index_base_b.has_dyn_sized_stack, 0
	.set _ZN9rocsparseL17sddmm_coox_kernelILi512ELi2ELb0EfiiDF16_DF16_fEEv20rocsparse_operation_S1_16rocsparse_order_S2_T4_S3_S3_T3_NS_24const_host_device_scalarIT2_EEPKT5_lPKT6_lS7_PT7_PKS4_SH_21rocsparse_index_base_b.has_recursion, 0
	.set _ZN9rocsparseL17sddmm_coox_kernelILi512ELi2ELb0EfiiDF16_DF16_fEEv20rocsparse_operation_S1_16rocsparse_order_S2_T4_S3_S3_T3_NS_24const_host_device_scalarIT2_EEPKT5_lPKT6_lS7_PT7_PKS4_SH_21rocsparse_index_base_b.has_indirect_call, 0
	.section	.AMDGPU.csdata,"",@progbits
; Kernel info:
; codeLenInByte = 996
; TotalNumSgprs: 20
; NumVgprs: 18
; ScratchSize: 0
; MemoryBound: 0
; FloatMode: 240
; IeeeMode: 1
; LDSByteSize: 2048 bytes/workgroup (compile time only)
; SGPRBlocks: 0
; VGPRBlocks: 2
; NumSGPRsForWavesPerEU: 20
; NumVGPRsForWavesPerEU: 18
; Occupancy: 16
; WaveLimiterHint : 0
; COMPUTE_PGM_RSRC2:SCRATCH_EN: 0
; COMPUTE_PGM_RSRC2:USER_SGPR: 6
; COMPUTE_PGM_RSRC2:TRAP_HANDLER: 0
; COMPUTE_PGM_RSRC2:TGID_X_EN: 1
; COMPUTE_PGM_RSRC2:TGID_Y_EN: 0
; COMPUTE_PGM_RSRC2:TGID_Z_EN: 0
; COMPUTE_PGM_RSRC2:TIDIG_COMP_CNT: 0
	.section	.text._ZN9rocsparseL17sddmm_coox_kernelILi512ELi1ELb0EfiiDF16_DF16_fEEv20rocsparse_operation_S1_16rocsparse_order_S2_T4_S3_S3_T3_NS_24const_host_device_scalarIT2_EEPKT5_lPKT6_lS7_PT7_PKS4_SH_21rocsparse_index_base_b,"axG",@progbits,_ZN9rocsparseL17sddmm_coox_kernelILi512ELi1ELb0EfiiDF16_DF16_fEEv20rocsparse_operation_S1_16rocsparse_order_S2_T4_S3_S3_T3_NS_24const_host_device_scalarIT2_EEPKT5_lPKT6_lS7_PT7_PKS4_SH_21rocsparse_index_base_b,comdat
	.globl	_ZN9rocsparseL17sddmm_coox_kernelILi512ELi1ELb0EfiiDF16_DF16_fEEv20rocsparse_operation_S1_16rocsparse_order_S2_T4_S3_S3_T3_NS_24const_host_device_scalarIT2_EEPKT5_lPKT6_lS7_PT7_PKS4_SH_21rocsparse_index_base_b ; -- Begin function _ZN9rocsparseL17sddmm_coox_kernelILi512ELi1ELb0EfiiDF16_DF16_fEEv20rocsparse_operation_S1_16rocsparse_order_S2_T4_S3_S3_T3_NS_24const_host_device_scalarIT2_EEPKT5_lPKT6_lS7_PT7_PKS4_SH_21rocsparse_index_base_b
	.p2align	8
	.type	_ZN9rocsparseL17sddmm_coox_kernelILi512ELi1ELb0EfiiDF16_DF16_fEEv20rocsparse_operation_S1_16rocsparse_order_S2_T4_S3_S3_T3_NS_24const_host_device_scalarIT2_EEPKT5_lPKT6_lS7_PT7_PKS4_SH_21rocsparse_index_base_b,@function
_ZN9rocsparseL17sddmm_coox_kernelILi512ELi1ELb0EfiiDF16_DF16_fEEv20rocsparse_operation_S1_16rocsparse_order_S2_T4_S3_S3_T3_NS_24const_host_device_scalarIT2_EEPKT5_lPKT6_lS7_PT7_PKS4_SH_21rocsparse_index_base_b: ; @_ZN9rocsparseL17sddmm_coox_kernelILi512ELi1ELb0EfiiDF16_DF16_fEEv20rocsparse_operation_S1_16rocsparse_order_S2_T4_S3_S3_T3_NS_24const_host_device_scalarIT2_EEPKT5_lPKT6_lS7_PT7_PKS4_SH_21rocsparse_index_base_b
; %bb.0:
	s_clause 0x2
	s_load_dwordx2 s[16:17], s[4:5], 0x68
	s_load_dwordx2 s[12:13], s[4:5], 0x20
	s_load_dwordx4 s[0:3], s[4:5], 0x40
	s_waitcnt lgkmcnt(0)
	s_bitcmp1_b32 s17, 0
	s_cselect_b32 s7, -1, 0
	s_and_b32 vcc_lo, exec_lo, s7
	s_xor_b32 s7, s7, -1
	s_cbranch_vccnz .LBB53_2
; %bb.1:
	s_load_dword s12, s[12:13], 0x0
.LBB53_2:
	s_andn2_b32 vcc_lo, exec_lo, s7
	s_cbranch_vccnz .LBB53_4
; %bb.3:
	s_load_dword s2, s[2:3], 0x0
.LBB53_4:
	s_waitcnt lgkmcnt(0)
	v_cmp_eq_f32_e64 s3, s12, 0
	v_cmp_eq_f32_e64 s7, s2, 1.0
	s_and_b32 s3, s3, s7
	s_and_b32 vcc_lo, exec_lo, s3
	s_cbranch_vccnz .LBB53_27
; %bb.5:
	s_load_dwordx2 s[14:15], s[4:5], 0x18
	v_lshl_or_b32 v1, s6, 9, v0
	s_mov_b32 s3, exec_lo
	s_waitcnt lgkmcnt(0)
	v_cmpx_gt_i32_e64 s15, v1
	s_cbranch_execz .LBB53_27
; %bb.6:
	s_load_dwordx4 s[8:11], s[4:5], 0x58
	v_ashrrev_i32_e32 v2, 31, v1
	v_lshlrev_b64 v[1:2], 2, v[1:2]
	s_waitcnt lgkmcnt(0)
	v_add_co_u32 v3, vcc_lo, s8, v1
	v_add_co_ci_u32_e64 v4, null, s9, v2, vcc_lo
	global_load_dword v5, v[3:4], off
	v_add_co_u32 v3, vcc_lo, s10, v1
	v_add_co_ci_u32_e64 v4, null, s11, v2, vcc_lo
	global_load_dword v7, v[3:4], off
	s_clause 0x1
	s_load_dwordx4 s[8:11], s[4:5], 0x0
	s_load_dwordx2 s[6:7], s[4:5], 0x30
	s_waitcnt lgkmcnt(0)
	s_cmp_eq_u32 s10, 1
	s_cselect_b32 s3, -1, 0
	s_cmpk_eq_i32 s8, 0x6f
	s_cselect_b32 s13, -1, 0
	s_cmpk_lg_i32 s8, 0x6f
	s_cselect_b32 s8, -1, 0
	s_cmp_lg_u32 s10, 1
	s_waitcnt vmcnt(1)
	v_subrev_nc_u32_e32 v5, s16, v5
	v_ashrrev_i32_e32 v6, 31, v5
	s_cbranch_scc0 .LBB53_10
; %bb.7:
	v_mov_b32_e32 v3, v5
	v_mov_b32_e32 v4, v6
	s_andn2_b32 vcc_lo, exec_lo, s13
	s_cbranch_vccnz .LBB53_9
; %bb.8:
	v_mul_lo_u32 v8, s7, v5
	v_mul_lo_u32 v9, s6, v6
	v_mad_u64_u32 v[3:4], null, s6, v5, 0
	v_add3_u32 v4, v4, v9, v8
.LBB53_9:
	s_cbranch_execz .LBB53_11
	s_branch .LBB53_14
.LBB53_10:
                                        ; implicit-def: $vgpr3_vgpr4
.LBB53_11:
	s_andn2_b32 vcc_lo, exec_lo, s8
	s_cbranch_vccnz .LBB53_13
; %bb.12:
	v_mul_lo_u32 v3, s7, v5
	v_mul_lo_u32 v4, s6, v6
	v_mad_u64_u32 v[5:6], null, s6, v5, 0
	v_add3_u32 v6, v6, v4, v3
.LBB53_13:
	v_mov_b32_e32 v3, v5
	v_mov_b32_e32 v4, v6
.LBB53_14:
	s_waitcnt vmcnt(0)
	v_subrev_nc_u32_e32 v5, s16, v7
	s_cmp_eq_u32 s11, 1
	s_cselect_b32 s7, -1, 0
	s_cmpk_eq_i32 s9, 0x6f
	v_ashrrev_i32_e32 v6, 31, v5
	s_cselect_b32 s10, -1, 0
	s_cmpk_lg_i32 s9, 0x6f
	s_cselect_b32 s8, -1, 0
	s_cmp_lg_u32 s11, 1
	s_cbranch_scc0 .LBB53_21
; %bb.15:
	v_mov_b32_e32 v8, v6
	v_mov_b32_e32 v7, v5
	s_andn2_b32 vcc_lo, exec_lo, s8
	s_cbranch_vccnz .LBB53_17
; %bb.16:
	v_mul_lo_u32 v9, s1, v5
	v_mul_lo_u32 v10, s0, v6
	v_mad_u64_u32 v[7:8], null, s0, v5, 0
	v_add3_u32 v8, v8, v10, v9
.LBB53_17:
	s_cbranch_execz .LBB53_22
; %bb.18:
	s_load_dwordx2 s[8:9], s[4:5], 0x50
	s_cmp_lt_i32 s14, 1
	s_cbranch_scc1 .LBB53_25
.LBB53_19:
	s_clause 0x1
	s_load_dwordx2 s[16:17], s[4:5], 0x38
	s_load_dwordx2 s[4:5], s[4:5], 0x28
	v_lshlrev_b64 v[5:6], 1, v[7:8]
	v_lshlrev_b64 v[7:8], 1, v[3:4]
	s_xor_b32 s1, s13, s3
	s_and_b32 s1, s1, exec_lo
	s_cselect_b32 s6, 1, s6
	s_xor_b32 s1, s10, s7
	s_and_b32 s1, s1, exec_lo
	s_cselect_b32 s0, s0, 1
	s_ashr_i32 s7, s6, 31
	s_ashr_i32 s1, s0, 31
	s_lshl_b64 s[0:1], s[0:1], 1
	s_waitcnt lgkmcnt(0)
	v_add_co_u32 v3, vcc_lo, s16, v5
	v_add_co_ci_u32_e64 v4, null, s17, v6, vcc_lo
	v_add_co_u32 v5, vcc_lo, s4, v7
	v_add_co_ci_u32_e64 v6, null, s5, v8, vcc_lo
	v_mov_b32_e32 v7, 0
	s_lshl_b64 s[4:5], s[6:7], 1
	.p2align	6
.LBB53_20:                              ; =>This Inner Loop Header: Depth=1
	global_load_ushort v8, v[5:6], off
	global_load_ushort v9, v[3:4], off
	v_add_co_u32 v3, vcc_lo, v3, s0
	v_add_co_ci_u32_e64 v4, null, s1, v4, vcc_lo
	v_add_co_u32 v5, vcc_lo, v5, s4
	v_add_co_ci_u32_e64 v6, null, s5, v6, vcc_lo
	s_add_i32 s14, s14, -1
	s_cmp_eq_u32 s14, 0
	s_waitcnt vmcnt(0)
	v_mul_f16_e32 v8, v8, v9
	v_cvt_f32_f16_e32 v8, v8
	v_add_f32_e32 v7, v7, v8
	s_cbranch_scc0 .LBB53_20
	s_branch .LBB53_26
.LBB53_21:
                                        ; implicit-def: $vgpr7_vgpr8
.LBB53_22:
	s_andn2_b32 vcc_lo, exec_lo, s10
	s_cbranch_vccnz .LBB53_24
; %bb.23:
	v_mul_lo_u32 v7, s1, v5
	v_mul_lo_u32 v8, s0, v6
	v_mad_u64_u32 v[5:6], null, s0, v5, 0
	v_add3_u32 v6, v6, v8, v7
.LBB53_24:
	v_mov_b32_e32 v8, v6
	v_mov_b32_e32 v7, v5
	s_load_dwordx2 s[8:9], s[4:5], 0x50
	s_cmp_lt_i32 s14, 1
	s_cbranch_scc0 .LBB53_19
.LBB53_25:
	v_mov_b32_e32 v7, 0
.LBB53_26:
	v_lshlrev_b32_e32 v3, 2, v0
	s_waitcnt lgkmcnt(0)
	v_add_co_u32 v0, vcc_lo, s8, v1
	v_add_co_ci_u32_e64 v1, null, s9, v2, vcc_lo
	ds_write_b32 v3, v7
	s_waitcnt lgkmcnt(0)
	s_barrier
	buffer_gl0_inv
	global_load_dword v2, v[0:1], off
	ds_read_b32 v3, v3
	s_waitcnt lgkmcnt(0)
	v_mul_f32_e32 v3, s12, v3
	s_waitcnt vmcnt(0)
	v_fmac_f32_e32 v3, s2, v2
	global_store_dword v[0:1], v3, off
.LBB53_27:
	s_endpgm
	.section	.rodata,"a",@progbits
	.p2align	6, 0x0
	.amdhsa_kernel _ZN9rocsparseL17sddmm_coox_kernelILi512ELi1ELb0EfiiDF16_DF16_fEEv20rocsparse_operation_S1_16rocsparse_order_S2_T4_S3_S3_T3_NS_24const_host_device_scalarIT2_EEPKT5_lPKT6_lS7_PT7_PKS4_SH_21rocsparse_index_base_b
		.amdhsa_group_segment_fixed_size 2048
		.amdhsa_private_segment_fixed_size 0
		.amdhsa_kernarg_size 112
		.amdhsa_user_sgpr_count 6
		.amdhsa_user_sgpr_private_segment_buffer 1
		.amdhsa_user_sgpr_dispatch_ptr 0
		.amdhsa_user_sgpr_queue_ptr 0
		.amdhsa_user_sgpr_kernarg_segment_ptr 1
		.amdhsa_user_sgpr_dispatch_id 0
		.amdhsa_user_sgpr_flat_scratch_init 0
		.amdhsa_user_sgpr_private_segment_size 0
		.amdhsa_wavefront_size32 1
		.amdhsa_uses_dynamic_stack 0
		.amdhsa_system_sgpr_private_segment_wavefront_offset 0
		.amdhsa_system_sgpr_workgroup_id_x 1
		.amdhsa_system_sgpr_workgroup_id_y 0
		.amdhsa_system_sgpr_workgroup_id_z 0
		.amdhsa_system_sgpr_workgroup_info 0
		.amdhsa_system_vgpr_workitem_id 0
		.amdhsa_next_free_vgpr 11
		.amdhsa_next_free_sgpr 18
		.amdhsa_reserve_vcc 1
		.amdhsa_reserve_flat_scratch 0
		.amdhsa_float_round_mode_32 0
		.amdhsa_float_round_mode_16_64 0
		.amdhsa_float_denorm_mode_32 3
		.amdhsa_float_denorm_mode_16_64 3
		.amdhsa_dx10_clamp 1
		.amdhsa_ieee_mode 1
		.amdhsa_fp16_overflow 0
		.amdhsa_workgroup_processor_mode 1
		.amdhsa_memory_ordered 1
		.amdhsa_forward_progress 1
		.amdhsa_shared_vgpr_count 0
		.amdhsa_exception_fp_ieee_invalid_op 0
		.amdhsa_exception_fp_denorm_src 0
		.amdhsa_exception_fp_ieee_div_zero 0
		.amdhsa_exception_fp_ieee_overflow 0
		.amdhsa_exception_fp_ieee_underflow 0
		.amdhsa_exception_fp_ieee_inexact 0
		.amdhsa_exception_int_div_zero 0
	.end_amdhsa_kernel
	.section	.text._ZN9rocsparseL17sddmm_coox_kernelILi512ELi1ELb0EfiiDF16_DF16_fEEv20rocsparse_operation_S1_16rocsparse_order_S2_T4_S3_S3_T3_NS_24const_host_device_scalarIT2_EEPKT5_lPKT6_lS7_PT7_PKS4_SH_21rocsparse_index_base_b,"axG",@progbits,_ZN9rocsparseL17sddmm_coox_kernelILi512ELi1ELb0EfiiDF16_DF16_fEEv20rocsparse_operation_S1_16rocsparse_order_S2_T4_S3_S3_T3_NS_24const_host_device_scalarIT2_EEPKT5_lPKT6_lS7_PT7_PKS4_SH_21rocsparse_index_base_b,comdat
.Lfunc_end53:
	.size	_ZN9rocsparseL17sddmm_coox_kernelILi512ELi1ELb0EfiiDF16_DF16_fEEv20rocsparse_operation_S1_16rocsparse_order_S2_T4_S3_S3_T3_NS_24const_host_device_scalarIT2_EEPKT5_lPKT6_lS7_PT7_PKS4_SH_21rocsparse_index_base_b, .Lfunc_end53-_ZN9rocsparseL17sddmm_coox_kernelILi512ELi1ELb0EfiiDF16_DF16_fEEv20rocsparse_operation_S1_16rocsparse_order_S2_T4_S3_S3_T3_NS_24const_host_device_scalarIT2_EEPKT5_lPKT6_lS7_PT7_PKS4_SH_21rocsparse_index_base_b
                                        ; -- End function
	.set _ZN9rocsparseL17sddmm_coox_kernelILi512ELi1ELb0EfiiDF16_DF16_fEEv20rocsparse_operation_S1_16rocsparse_order_S2_T4_S3_S3_T3_NS_24const_host_device_scalarIT2_EEPKT5_lPKT6_lS7_PT7_PKS4_SH_21rocsparse_index_base_b.num_vgpr, 11
	.set _ZN9rocsparseL17sddmm_coox_kernelILi512ELi1ELb0EfiiDF16_DF16_fEEv20rocsparse_operation_S1_16rocsparse_order_S2_T4_S3_S3_T3_NS_24const_host_device_scalarIT2_EEPKT5_lPKT6_lS7_PT7_PKS4_SH_21rocsparse_index_base_b.num_agpr, 0
	.set _ZN9rocsparseL17sddmm_coox_kernelILi512ELi1ELb0EfiiDF16_DF16_fEEv20rocsparse_operation_S1_16rocsparse_order_S2_T4_S3_S3_T3_NS_24const_host_device_scalarIT2_EEPKT5_lPKT6_lS7_PT7_PKS4_SH_21rocsparse_index_base_b.numbered_sgpr, 18
	.set _ZN9rocsparseL17sddmm_coox_kernelILi512ELi1ELb0EfiiDF16_DF16_fEEv20rocsparse_operation_S1_16rocsparse_order_S2_T4_S3_S3_T3_NS_24const_host_device_scalarIT2_EEPKT5_lPKT6_lS7_PT7_PKS4_SH_21rocsparse_index_base_b.num_named_barrier, 0
	.set _ZN9rocsparseL17sddmm_coox_kernelILi512ELi1ELb0EfiiDF16_DF16_fEEv20rocsparse_operation_S1_16rocsparse_order_S2_T4_S3_S3_T3_NS_24const_host_device_scalarIT2_EEPKT5_lPKT6_lS7_PT7_PKS4_SH_21rocsparse_index_base_b.private_seg_size, 0
	.set _ZN9rocsparseL17sddmm_coox_kernelILi512ELi1ELb0EfiiDF16_DF16_fEEv20rocsparse_operation_S1_16rocsparse_order_S2_T4_S3_S3_T3_NS_24const_host_device_scalarIT2_EEPKT5_lPKT6_lS7_PT7_PKS4_SH_21rocsparse_index_base_b.uses_vcc, 1
	.set _ZN9rocsparseL17sddmm_coox_kernelILi512ELi1ELb0EfiiDF16_DF16_fEEv20rocsparse_operation_S1_16rocsparse_order_S2_T4_S3_S3_T3_NS_24const_host_device_scalarIT2_EEPKT5_lPKT6_lS7_PT7_PKS4_SH_21rocsparse_index_base_b.uses_flat_scratch, 0
	.set _ZN9rocsparseL17sddmm_coox_kernelILi512ELi1ELb0EfiiDF16_DF16_fEEv20rocsparse_operation_S1_16rocsparse_order_S2_T4_S3_S3_T3_NS_24const_host_device_scalarIT2_EEPKT5_lPKT6_lS7_PT7_PKS4_SH_21rocsparse_index_base_b.has_dyn_sized_stack, 0
	.set _ZN9rocsparseL17sddmm_coox_kernelILi512ELi1ELb0EfiiDF16_DF16_fEEv20rocsparse_operation_S1_16rocsparse_order_S2_T4_S3_S3_T3_NS_24const_host_device_scalarIT2_EEPKT5_lPKT6_lS7_PT7_PKS4_SH_21rocsparse_index_base_b.has_recursion, 0
	.set _ZN9rocsparseL17sddmm_coox_kernelILi512ELi1ELb0EfiiDF16_DF16_fEEv20rocsparse_operation_S1_16rocsparse_order_S2_T4_S3_S3_T3_NS_24const_host_device_scalarIT2_EEPKT5_lPKT6_lS7_PT7_PKS4_SH_21rocsparse_index_base_b.has_indirect_call, 0
	.section	.AMDGPU.csdata,"",@progbits
; Kernel info:
; codeLenInByte = 880
; TotalNumSgprs: 20
; NumVgprs: 11
; ScratchSize: 0
; MemoryBound: 0
; FloatMode: 240
; IeeeMode: 1
; LDSByteSize: 2048 bytes/workgroup (compile time only)
; SGPRBlocks: 0
; VGPRBlocks: 1
; NumSGPRsForWavesPerEU: 20
; NumVGPRsForWavesPerEU: 11
; Occupancy: 16
; WaveLimiterHint : 0
; COMPUTE_PGM_RSRC2:SCRATCH_EN: 0
; COMPUTE_PGM_RSRC2:USER_SGPR: 6
; COMPUTE_PGM_RSRC2:TRAP_HANDLER: 0
; COMPUTE_PGM_RSRC2:TGID_X_EN: 1
; COMPUTE_PGM_RSRC2:TGID_Y_EN: 0
; COMPUTE_PGM_RSRC2:TGID_Z_EN: 0
; COMPUTE_PGM_RSRC2:TIDIG_COMP_CNT: 0
	.section	.text._ZN9rocsparseL17sddmm_coox_kernelILi512ELi8ELb0EfllDF16_DF16_fEEv20rocsparse_operation_S1_16rocsparse_order_S2_T4_S3_S3_T3_NS_24const_host_device_scalarIT2_EEPKT5_lPKT6_lS7_PT7_PKS4_SH_21rocsparse_index_base_b,"axG",@progbits,_ZN9rocsparseL17sddmm_coox_kernelILi512ELi8ELb0EfllDF16_DF16_fEEv20rocsparse_operation_S1_16rocsparse_order_S2_T4_S3_S3_T3_NS_24const_host_device_scalarIT2_EEPKT5_lPKT6_lS7_PT7_PKS4_SH_21rocsparse_index_base_b,comdat
	.globl	_ZN9rocsparseL17sddmm_coox_kernelILi512ELi8ELb0EfllDF16_DF16_fEEv20rocsparse_operation_S1_16rocsparse_order_S2_T4_S3_S3_T3_NS_24const_host_device_scalarIT2_EEPKT5_lPKT6_lS7_PT7_PKS4_SH_21rocsparse_index_base_b ; -- Begin function _ZN9rocsparseL17sddmm_coox_kernelILi512ELi8ELb0EfllDF16_DF16_fEEv20rocsparse_operation_S1_16rocsparse_order_S2_T4_S3_S3_T3_NS_24const_host_device_scalarIT2_EEPKT5_lPKT6_lS7_PT7_PKS4_SH_21rocsparse_index_base_b
	.p2align	8
	.type	_ZN9rocsparseL17sddmm_coox_kernelILi512ELi8ELb0EfllDF16_DF16_fEEv20rocsparse_operation_S1_16rocsparse_order_S2_T4_S3_S3_T3_NS_24const_host_device_scalarIT2_EEPKT5_lPKT6_lS7_PT7_PKS4_SH_21rocsparse_index_base_b,@function
_ZN9rocsparseL17sddmm_coox_kernelILi512ELi8ELb0EfllDF16_DF16_fEEv20rocsparse_operation_S1_16rocsparse_order_S2_T4_S3_S3_T3_NS_24const_host_device_scalarIT2_EEPKT5_lPKT6_lS7_PT7_PKS4_SH_21rocsparse_index_base_b: ; @_ZN9rocsparseL17sddmm_coox_kernelILi512ELi8ELb0EfllDF16_DF16_fEEv20rocsparse_operation_S1_16rocsparse_order_S2_T4_S3_S3_T3_NS_24const_host_device_scalarIT2_EEPKT5_lPKT6_lS7_PT7_PKS4_SH_21rocsparse_index_base_b
; %bb.0:
	s_clause 0x2
	s_load_dwordx2 s[18:19], s[4:5], 0x78
	s_load_dwordx2 s[16:17], s[4:5], 0x30
	s_load_dwordx4 s[0:3], s[4:5], 0x50
	s_waitcnt lgkmcnt(0)
	s_bitcmp1_b32 s19, 0
	s_cselect_b32 s7, -1, 0
	s_and_b32 vcc_lo, exec_lo, s7
	s_xor_b32 s7, s7, -1
	s_cbranch_vccnz .LBB54_2
; %bb.1:
	s_load_dword s16, s[16:17], 0x0
.LBB54_2:
	s_andn2_b32 vcc_lo, exec_lo, s7
	s_cbranch_vccnz .LBB54_4
; %bb.3:
	s_load_dword s2, s[2:3], 0x0
.LBB54_4:
	s_waitcnt lgkmcnt(0)
	v_cmp_eq_f32_e64 s3, s16, 0
	v_cmp_eq_f32_e64 s7, s2, 1.0
	s_and_b32 s3, s3, s7
	s_and_b32 vcc_lo, exec_lo, s3
	s_cbranch_vccnz .LBB54_34
; %bb.5:
	s_load_dwordx4 s[8:11], s[4:5], 0x20
	v_lshrrev_b32_e32 v11, 3, v0
	v_mov_b32_e32 v2, 0
	s_mov_b32 s3, exec_lo
	v_lshl_or_b32 v1, s6, 6, v11
	s_waitcnt lgkmcnt(0)
	v_cmpx_gt_i64_e64 s[10:11], v[1:2]
	s_cbranch_execz .LBB54_34
; %bb.6:
	s_load_dwordx4 s[12:15], s[4:5], 0x68
	v_lshlrev_b64 v[3:4], 3, v[1:2]
	s_waitcnt lgkmcnt(0)
	v_add_co_u32 v5, vcc_lo, s12, v3
	v_add_co_ci_u32_e64 v6, null, s13, v4, vcc_lo
	v_add_co_u32 v3, vcc_lo, s14, v3
	v_add_co_ci_u32_e64 v4, null, s15, v4, vcc_lo
	global_load_dwordx2 v[5:6], v[5:6], off
	global_load_dwordx2 v[3:4], v[3:4], off
	s_clause 0x1
	s_load_dwordx4 s[12:15], s[4:5], 0x0
	s_load_dwordx2 s[10:11], s[4:5], 0x40
	s_waitcnt lgkmcnt(0)
	s_cmp_eq_u32 s14, 1
	s_cselect_b32 s3, -1, 0
	s_cmpk_eq_i32 s12, 0x6f
	s_cselect_b32 s17, -1, 0
	s_cmpk_lg_i32 s12, 0x6f
	s_cselect_b32 s6, -1, 0
	s_cmp_lg_u32 s14, 1
	s_waitcnt vmcnt(1)
	v_sub_co_u32 v7, vcc_lo, v5, s18
	v_subrev_co_ci_u32_e64 v8, null, 0, v6, vcc_lo
	s_cbranch_scc0 .LBB54_10
; %bb.7:
	v_mov_b32_e32 v5, v7
	v_mov_b32_e32 v6, v8
	s_andn2_b32 vcc_lo, exec_lo, s17
	s_cbranch_vccnz .LBB54_9
; %bb.8:
	v_mul_lo_u32 v9, v8, s10
	v_mul_lo_u32 v10, v7, s11
	v_mad_u64_u32 v[5:6], null, v7, s10, 0
	v_add3_u32 v6, v6, v10, v9
.LBB54_9:
	s_cbranch_execz .LBB54_11
	s_branch .LBB54_14
.LBB54_10:
                                        ; implicit-def: $vgpr5_vgpr6
.LBB54_11:
	s_andn2_b32 vcc_lo, exec_lo, s6
	s_cbranch_vccnz .LBB54_13
; %bb.12:
	v_mul_lo_u32 v5, v8, s10
	v_mul_lo_u32 v6, v7, s11
	v_mad_u64_u32 v[7:8], null, v7, s10, 0
	v_add3_u32 v8, v8, v6, v5
.LBB54_13:
	v_mov_b32_e32 v5, v7
	v_mov_b32_e32 v6, v8
.LBB54_14:
	s_cmp_eq_u32 s15, 1
	s_waitcnt vmcnt(0)
	v_sub_co_u32 v3, vcc_lo, v3, s18
	s_cselect_b32 s14, -1, 0
	s_cmpk_eq_i32 s13, 0x6f
	v_subrev_co_ci_u32_e64 v4, null, 0, v4, vcc_lo
	s_cselect_b32 s19, -1, 0
	s_cmpk_lg_i32 s13, 0x6f
	s_cselect_b32 s6, -1, 0
	s_cmp_lg_u32 s15, 1
	s_cbranch_scc0 .LBB54_18
; %bb.15:
	v_mov_b32_e32 v8, v4
	v_mov_b32_e32 v7, v3
	s_andn2_b32 vcc_lo, exec_lo, s6
	s_cbranch_vccnz .LBB54_17
; %bb.16:
	v_mul_lo_u32 v9, v4, s0
	v_mul_lo_u32 v10, v3, s1
	v_mad_u64_u32 v[7:8], null, v3, s0, 0
	v_add3_u32 v8, v8, v10, v9
.LBB54_17:
	s_cbranch_execz .LBB54_19
	s_branch .LBB54_22
.LBB54_18:
                                        ; implicit-def: $vgpr7_vgpr8
.LBB54_19:
	s_andn2_b32 vcc_lo, exec_lo, s19
	s_cbranch_vccnz .LBB54_21
; %bb.20:
	v_mul_lo_u32 v7, v4, s0
	v_mul_lo_u32 v8, v3, s1
	v_mad_u64_u32 v[3:4], null, v3, s0, 0
	v_add3_u32 v4, v4, v8, v7
.LBB54_21:
	v_mov_b32_e32 v8, v4
	v_mov_b32_e32 v7, v3
.LBB54_22:
	s_load_dwordx2 s[6:7], s[4:5], 0x60
	v_and_b32_e32 v3, 7, v0
	v_mov_b32_e32 v4, 0
	s_mov_b32 s12, exec_lo
	v_cmpx_gt_i64_e64 s[8:9], v[3:4]
	s_cbranch_execz .LBB54_26
; %bb.23:
	s_xor_b32 s3, s17, s3
	v_lshlrev_b64 v[7:8], 1, v[7:8]
	s_and_b32 s3, s3, exec_lo
	s_cselect_b32 s11, 0, s11
	s_cselect_b32 s10, 1, s10
	s_xor_b32 s3, s19, s14
	v_mad_u64_u32 v[9:10], null, s10, v3, 0
	s_and_b32 s3, s3, exec_lo
	s_cselect_b32 s14, s0, 1
	s_cselect_b32 s15, s1, 0
	v_mad_u64_u32 v[12:13], null, s14, v3, 0
	s_load_dwordx2 s[0:1], s[4:5], 0x38
	v_mov_b32_e32 v0, v10
	s_load_dwordx2 s[4:5], s[4:5], 0x48
	v_mov_b32_e32 v10, v13
	v_mad_u64_u32 v[13:14], null, s11, v3, v[0:1]
	v_mov_b32_e32 v0, 0
	s_lshl_b64 s[10:11], s[10:11], 4
	v_mad_u64_u32 v[14:15], null, s15, v3, v[10:11]
	v_lshlrev_b64 v[15:16], 1, v[5:6]
	v_mov_b32_e32 v6, v4
	v_mov_b32_e32 v10, v13
	;; [unrolled: 1-line block ×4, first 2 shown]
	v_lshlrev_b64 v[9:10], 1, v[9:10]
	v_lshlrev_b64 v[12:13], 1, v[12:13]
	v_add_co_u32 v4, vcc_lo, v9, v15
	v_add_co_ci_u32_e64 v9, null, v10, v16, vcc_lo
	v_add_co_u32 v10, vcc_lo, v12, v7
	v_add_co_ci_u32_e64 v12, null, v13, v8, vcc_lo
	s_waitcnt lgkmcnt(0)
	v_add_co_u32 v7, vcc_lo, s0, v4
	v_add_co_ci_u32_e64 v8, null, s1, v9, vcc_lo
	v_add_co_u32 v9, vcc_lo, s4, v10
	v_add_co_ci_u32_e64 v10, null, s5, v12, vcc_lo
	v_mov_b32_e32 v4, v0
	s_mov_b32 s1, 0
	s_lshl_b64 s[4:5], s[14:15], 4
	.p2align	6
.LBB54_24:                              ; =>This Inner Loop Header: Depth=1
	global_load_ushort v0, v[7:8], off
	global_load_ushort v12, v[9:10], off
	v_add_co_u32 v5, vcc_lo, v5, 8
	v_add_co_ci_u32_e64 v6, null, 0, v6, vcc_lo
	v_add_co_u32 v9, vcc_lo, v9, s4
	v_add_co_ci_u32_e64 v10, null, s5, v10, vcc_lo
	v_cmp_le_i64_e32 vcc_lo, s[8:9], v[5:6]
	v_add_co_u32 v7, s0, v7, s10
	v_add_co_ci_u32_e64 v8, null, s11, v8, s0
	s_or_b32 s1, vcc_lo, s1
	s_waitcnt vmcnt(0)
	v_mul_f16_e32 v0, v0, v12
	v_cvt_f32_f16_e32 v0, v0
	v_add_f32_e32 v4, v4, v0
	s_andn2_b32 exec_lo, exec_lo, s1
	s_cbranch_execnz .LBB54_24
; %bb.25:
	s_or_b32 exec_lo, exec_lo, s1
.LBB54_26:
	s_or_b32 exec_lo, exec_lo, s12
	v_lshlrev_b32_e32 v0, 5, v11
	s_mov_b32 s0, exec_lo
	v_lshl_or_b32 v5, v3, 2, v0
	ds_write_b32 v5, v4
	s_waitcnt lgkmcnt(0)
	s_barrier
	buffer_gl0_inv
	v_cmpx_gt_u32_e32 4, v3
	s_cbranch_execz .LBB54_28
; %bb.27:
	ds_read2_b32 v[6:7], v5 offset1:4
	s_waitcnt lgkmcnt(0)
	v_add_f32_e32 v4, v7, v6
	ds_write_b32 v5, v4
.LBB54_28:
	s_or_b32 exec_lo, exec_lo, s0
	s_mov_b32 s0, exec_lo
	s_waitcnt lgkmcnt(0)
	s_barrier
	buffer_gl0_inv
	v_cmpx_gt_u32_e32 2, v3
	s_cbranch_execz .LBB54_30
; %bb.29:
	ds_read2_b32 v[6:7], v5 offset1:2
	s_waitcnt lgkmcnt(0)
	v_add_f32_e32 v4, v7, v6
	ds_write_b32 v5, v4
.LBB54_30:
	s_or_b32 exec_lo, exec_lo, s0
	v_cmp_eq_u32_e32 vcc_lo, 0, v3
	s_waitcnt lgkmcnt(0)
	s_barrier
	buffer_gl0_inv
	s_and_saveexec_b32 s0, vcc_lo
	s_cbranch_execz .LBB54_32
; %bb.31:
	ds_read2_b32 v[3:4], v5 offset1:1
	s_waitcnt lgkmcnt(0)
	v_add_f32_e32 v3, v4, v3
	ds_write_b32 v5, v3
.LBB54_32:
	s_or_b32 exec_lo, exec_lo, s0
	s_waitcnt lgkmcnt(0)
	s_barrier
	buffer_gl0_inv
	s_and_b32 exec_lo, exec_lo, vcc_lo
	s_cbranch_execz .LBB54_34
; %bb.33:
	v_lshlrev_b64 v[1:2], 2, v[1:2]
	ds_read_b32 v0, v0
	v_add_co_u32 v1, vcc_lo, s6, v1
	v_add_co_ci_u32_e64 v2, null, s7, v2, vcc_lo
	global_load_dword v3, v[1:2], off
	s_waitcnt lgkmcnt(0)
	v_mul_f32_e32 v0, s16, v0
	s_waitcnt vmcnt(0)
	v_fmac_f32_e32 v0, s2, v3
	global_store_dword v[1:2], v0, off
.LBB54_34:
	s_endpgm
	.section	.rodata,"a",@progbits
	.p2align	6, 0x0
	.amdhsa_kernel _ZN9rocsparseL17sddmm_coox_kernelILi512ELi8ELb0EfllDF16_DF16_fEEv20rocsparse_operation_S1_16rocsparse_order_S2_T4_S3_S3_T3_NS_24const_host_device_scalarIT2_EEPKT5_lPKT6_lS7_PT7_PKS4_SH_21rocsparse_index_base_b
		.amdhsa_group_segment_fixed_size 2048
		.amdhsa_private_segment_fixed_size 0
		.amdhsa_kernarg_size 128
		.amdhsa_user_sgpr_count 6
		.amdhsa_user_sgpr_private_segment_buffer 1
		.amdhsa_user_sgpr_dispatch_ptr 0
		.amdhsa_user_sgpr_queue_ptr 0
		.amdhsa_user_sgpr_kernarg_segment_ptr 1
		.amdhsa_user_sgpr_dispatch_id 0
		.amdhsa_user_sgpr_flat_scratch_init 0
		.amdhsa_user_sgpr_private_segment_size 0
		.amdhsa_wavefront_size32 1
		.amdhsa_uses_dynamic_stack 0
		.amdhsa_system_sgpr_private_segment_wavefront_offset 0
		.amdhsa_system_sgpr_workgroup_id_x 1
		.amdhsa_system_sgpr_workgroup_id_y 0
		.amdhsa_system_sgpr_workgroup_id_z 0
		.amdhsa_system_sgpr_workgroup_info 0
		.amdhsa_system_vgpr_workitem_id 0
		.amdhsa_next_free_vgpr 17
		.amdhsa_next_free_sgpr 20
		.amdhsa_reserve_vcc 1
		.amdhsa_reserve_flat_scratch 0
		.amdhsa_float_round_mode_32 0
		.amdhsa_float_round_mode_16_64 0
		.amdhsa_float_denorm_mode_32 3
		.amdhsa_float_denorm_mode_16_64 3
		.amdhsa_dx10_clamp 1
		.amdhsa_ieee_mode 1
		.amdhsa_fp16_overflow 0
		.amdhsa_workgroup_processor_mode 1
		.amdhsa_memory_ordered 1
		.amdhsa_forward_progress 1
		.amdhsa_shared_vgpr_count 0
		.amdhsa_exception_fp_ieee_invalid_op 0
		.amdhsa_exception_fp_denorm_src 0
		.amdhsa_exception_fp_ieee_div_zero 0
		.amdhsa_exception_fp_ieee_overflow 0
		.amdhsa_exception_fp_ieee_underflow 0
		.amdhsa_exception_fp_ieee_inexact 0
		.amdhsa_exception_int_div_zero 0
	.end_amdhsa_kernel
	.section	.text._ZN9rocsparseL17sddmm_coox_kernelILi512ELi8ELb0EfllDF16_DF16_fEEv20rocsparse_operation_S1_16rocsparse_order_S2_T4_S3_S3_T3_NS_24const_host_device_scalarIT2_EEPKT5_lPKT6_lS7_PT7_PKS4_SH_21rocsparse_index_base_b,"axG",@progbits,_ZN9rocsparseL17sddmm_coox_kernelILi512ELi8ELb0EfllDF16_DF16_fEEv20rocsparse_operation_S1_16rocsparse_order_S2_T4_S3_S3_T3_NS_24const_host_device_scalarIT2_EEPKT5_lPKT6_lS7_PT7_PKS4_SH_21rocsparse_index_base_b,comdat
.Lfunc_end54:
	.size	_ZN9rocsparseL17sddmm_coox_kernelILi512ELi8ELb0EfllDF16_DF16_fEEv20rocsparse_operation_S1_16rocsparse_order_S2_T4_S3_S3_T3_NS_24const_host_device_scalarIT2_EEPKT5_lPKT6_lS7_PT7_PKS4_SH_21rocsparse_index_base_b, .Lfunc_end54-_ZN9rocsparseL17sddmm_coox_kernelILi512ELi8ELb0EfllDF16_DF16_fEEv20rocsparse_operation_S1_16rocsparse_order_S2_T4_S3_S3_T3_NS_24const_host_device_scalarIT2_EEPKT5_lPKT6_lS7_PT7_PKS4_SH_21rocsparse_index_base_b
                                        ; -- End function
	.set _ZN9rocsparseL17sddmm_coox_kernelILi512ELi8ELb0EfllDF16_DF16_fEEv20rocsparse_operation_S1_16rocsparse_order_S2_T4_S3_S3_T3_NS_24const_host_device_scalarIT2_EEPKT5_lPKT6_lS7_PT7_PKS4_SH_21rocsparse_index_base_b.num_vgpr, 17
	.set _ZN9rocsparseL17sddmm_coox_kernelILi512ELi8ELb0EfllDF16_DF16_fEEv20rocsparse_operation_S1_16rocsparse_order_S2_T4_S3_S3_T3_NS_24const_host_device_scalarIT2_EEPKT5_lPKT6_lS7_PT7_PKS4_SH_21rocsparse_index_base_b.num_agpr, 0
	.set _ZN9rocsparseL17sddmm_coox_kernelILi512ELi8ELb0EfllDF16_DF16_fEEv20rocsparse_operation_S1_16rocsparse_order_S2_T4_S3_S3_T3_NS_24const_host_device_scalarIT2_EEPKT5_lPKT6_lS7_PT7_PKS4_SH_21rocsparse_index_base_b.numbered_sgpr, 20
	.set _ZN9rocsparseL17sddmm_coox_kernelILi512ELi8ELb0EfllDF16_DF16_fEEv20rocsparse_operation_S1_16rocsparse_order_S2_T4_S3_S3_T3_NS_24const_host_device_scalarIT2_EEPKT5_lPKT6_lS7_PT7_PKS4_SH_21rocsparse_index_base_b.num_named_barrier, 0
	.set _ZN9rocsparseL17sddmm_coox_kernelILi512ELi8ELb0EfllDF16_DF16_fEEv20rocsparse_operation_S1_16rocsparse_order_S2_T4_S3_S3_T3_NS_24const_host_device_scalarIT2_EEPKT5_lPKT6_lS7_PT7_PKS4_SH_21rocsparse_index_base_b.private_seg_size, 0
	.set _ZN9rocsparseL17sddmm_coox_kernelILi512ELi8ELb0EfllDF16_DF16_fEEv20rocsparse_operation_S1_16rocsparse_order_S2_T4_S3_S3_T3_NS_24const_host_device_scalarIT2_EEPKT5_lPKT6_lS7_PT7_PKS4_SH_21rocsparse_index_base_b.uses_vcc, 1
	.set _ZN9rocsparseL17sddmm_coox_kernelILi512ELi8ELb0EfllDF16_DF16_fEEv20rocsparse_operation_S1_16rocsparse_order_S2_T4_S3_S3_T3_NS_24const_host_device_scalarIT2_EEPKT5_lPKT6_lS7_PT7_PKS4_SH_21rocsparse_index_base_b.uses_flat_scratch, 0
	.set _ZN9rocsparseL17sddmm_coox_kernelILi512ELi8ELb0EfllDF16_DF16_fEEv20rocsparse_operation_S1_16rocsparse_order_S2_T4_S3_S3_T3_NS_24const_host_device_scalarIT2_EEPKT5_lPKT6_lS7_PT7_PKS4_SH_21rocsparse_index_base_b.has_dyn_sized_stack, 0
	.set _ZN9rocsparseL17sddmm_coox_kernelILi512ELi8ELb0EfllDF16_DF16_fEEv20rocsparse_operation_S1_16rocsparse_order_S2_T4_S3_S3_T3_NS_24const_host_device_scalarIT2_EEPKT5_lPKT6_lS7_PT7_PKS4_SH_21rocsparse_index_base_b.has_recursion, 0
	.set _ZN9rocsparseL17sddmm_coox_kernelILi512ELi8ELb0EfllDF16_DF16_fEEv20rocsparse_operation_S1_16rocsparse_order_S2_T4_S3_S3_T3_NS_24const_host_device_scalarIT2_EEPKT5_lPKT6_lS7_PT7_PKS4_SH_21rocsparse_index_base_b.has_indirect_call, 0
	.section	.AMDGPU.csdata,"",@progbits
; Kernel info:
; codeLenInByte = 1216
; TotalNumSgprs: 22
; NumVgprs: 17
; ScratchSize: 0
; MemoryBound: 0
; FloatMode: 240
; IeeeMode: 1
; LDSByteSize: 2048 bytes/workgroup (compile time only)
; SGPRBlocks: 0
; VGPRBlocks: 2
; NumSGPRsForWavesPerEU: 22
; NumVGPRsForWavesPerEU: 17
; Occupancy: 16
; WaveLimiterHint : 0
; COMPUTE_PGM_RSRC2:SCRATCH_EN: 0
; COMPUTE_PGM_RSRC2:USER_SGPR: 6
; COMPUTE_PGM_RSRC2:TRAP_HANDLER: 0
; COMPUTE_PGM_RSRC2:TGID_X_EN: 1
; COMPUTE_PGM_RSRC2:TGID_Y_EN: 0
; COMPUTE_PGM_RSRC2:TGID_Z_EN: 0
; COMPUTE_PGM_RSRC2:TIDIG_COMP_CNT: 0
	.section	.text._ZN9rocsparseL17sddmm_coox_kernelILi512ELi4ELb0EfllDF16_DF16_fEEv20rocsparse_operation_S1_16rocsparse_order_S2_T4_S3_S3_T3_NS_24const_host_device_scalarIT2_EEPKT5_lPKT6_lS7_PT7_PKS4_SH_21rocsparse_index_base_b,"axG",@progbits,_ZN9rocsparseL17sddmm_coox_kernelILi512ELi4ELb0EfllDF16_DF16_fEEv20rocsparse_operation_S1_16rocsparse_order_S2_T4_S3_S3_T3_NS_24const_host_device_scalarIT2_EEPKT5_lPKT6_lS7_PT7_PKS4_SH_21rocsparse_index_base_b,comdat
	.globl	_ZN9rocsparseL17sddmm_coox_kernelILi512ELi4ELb0EfllDF16_DF16_fEEv20rocsparse_operation_S1_16rocsparse_order_S2_T4_S3_S3_T3_NS_24const_host_device_scalarIT2_EEPKT5_lPKT6_lS7_PT7_PKS4_SH_21rocsparse_index_base_b ; -- Begin function _ZN9rocsparseL17sddmm_coox_kernelILi512ELi4ELb0EfllDF16_DF16_fEEv20rocsparse_operation_S1_16rocsparse_order_S2_T4_S3_S3_T3_NS_24const_host_device_scalarIT2_EEPKT5_lPKT6_lS7_PT7_PKS4_SH_21rocsparse_index_base_b
	.p2align	8
	.type	_ZN9rocsparseL17sddmm_coox_kernelILi512ELi4ELb0EfllDF16_DF16_fEEv20rocsparse_operation_S1_16rocsparse_order_S2_T4_S3_S3_T3_NS_24const_host_device_scalarIT2_EEPKT5_lPKT6_lS7_PT7_PKS4_SH_21rocsparse_index_base_b,@function
_ZN9rocsparseL17sddmm_coox_kernelILi512ELi4ELb0EfllDF16_DF16_fEEv20rocsparse_operation_S1_16rocsparse_order_S2_T4_S3_S3_T3_NS_24const_host_device_scalarIT2_EEPKT5_lPKT6_lS7_PT7_PKS4_SH_21rocsparse_index_base_b: ; @_ZN9rocsparseL17sddmm_coox_kernelILi512ELi4ELb0EfllDF16_DF16_fEEv20rocsparse_operation_S1_16rocsparse_order_S2_T4_S3_S3_T3_NS_24const_host_device_scalarIT2_EEPKT5_lPKT6_lS7_PT7_PKS4_SH_21rocsparse_index_base_b
; %bb.0:
	s_clause 0x2
	s_load_dwordx2 s[18:19], s[4:5], 0x78
	s_load_dwordx2 s[16:17], s[4:5], 0x30
	s_load_dwordx4 s[0:3], s[4:5], 0x50
	s_waitcnt lgkmcnt(0)
	s_bitcmp1_b32 s19, 0
	s_cselect_b32 s7, -1, 0
	s_and_b32 vcc_lo, exec_lo, s7
	s_xor_b32 s7, s7, -1
	s_cbranch_vccnz .LBB55_2
; %bb.1:
	s_load_dword s16, s[16:17], 0x0
.LBB55_2:
	s_andn2_b32 vcc_lo, exec_lo, s7
	s_cbranch_vccnz .LBB55_4
; %bb.3:
	s_load_dword s2, s[2:3], 0x0
.LBB55_4:
	s_waitcnt lgkmcnt(0)
	v_cmp_eq_f32_e64 s3, s16, 0
	v_cmp_eq_f32_e64 s7, s2, 1.0
	s_and_b32 s3, s3, s7
	s_and_b32 vcc_lo, exec_lo, s3
	s_cbranch_vccnz .LBB55_32
; %bb.5:
	s_load_dwordx4 s[8:11], s[4:5], 0x20
	v_lshrrev_b32_e32 v11, 2, v0
	v_mov_b32_e32 v2, 0
	s_mov_b32 s3, exec_lo
	v_lshl_or_b32 v1, s6, 7, v11
	s_waitcnt lgkmcnt(0)
	v_cmpx_gt_i64_e64 s[10:11], v[1:2]
	s_cbranch_execz .LBB55_32
; %bb.6:
	s_load_dwordx4 s[12:15], s[4:5], 0x68
	v_lshlrev_b64 v[3:4], 3, v[1:2]
	s_waitcnt lgkmcnt(0)
	v_add_co_u32 v5, vcc_lo, s12, v3
	v_add_co_ci_u32_e64 v6, null, s13, v4, vcc_lo
	v_add_co_u32 v3, vcc_lo, s14, v3
	v_add_co_ci_u32_e64 v4, null, s15, v4, vcc_lo
	global_load_dwordx2 v[7:8], v[5:6], off
	global_load_dwordx2 v[5:6], v[3:4], off
	s_clause 0x1
	s_load_dwordx4 s[12:15], s[4:5], 0x0
	s_load_dwordx2 s[10:11], s[4:5], 0x40
	s_waitcnt lgkmcnt(0)
	s_cmp_eq_u32 s14, 1
	s_cselect_b32 s3, -1, 0
	s_cmpk_eq_i32 s12, 0x6f
	s_cselect_b32 s17, -1, 0
	s_cmpk_lg_i32 s12, 0x6f
	s_cselect_b32 s6, -1, 0
	s_cmp_lg_u32 s14, 1
	s_waitcnt vmcnt(1)
	v_sub_co_u32 v7, vcc_lo, v7, s18
	v_subrev_co_ci_u32_e64 v8, null, 0, v8, vcc_lo
	s_cbranch_scc0 .LBB55_10
; %bb.7:
	v_mov_b32_e32 v3, v7
	v_mov_b32_e32 v4, v8
	s_andn2_b32 vcc_lo, exec_lo, s17
	s_cbranch_vccnz .LBB55_9
; %bb.8:
	v_mul_lo_u32 v9, v8, s10
	v_mul_lo_u32 v10, v7, s11
	v_mad_u64_u32 v[3:4], null, v7, s10, 0
	v_add3_u32 v4, v4, v10, v9
.LBB55_9:
	s_cbranch_execz .LBB55_11
	s_branch .LBB55_14
.LBB55_10:
                                        ; implicit-def: $vgpr3_vgpr4
.LBB55_11:
	s_andn2_b32 vcc_lo, exec_lo, s6
	s_cbranch_vccnz .LBB55_13
; %bb.12:
	v_mul_lo_u32 v3, v8, s10
	v_mul_lo_u32 v4, v7, s11
	v_mad_u64_u32 v[7:8], null, v7, s10, 0
	v_add3_u32 v8, v8, v4, v3
.LBB55_13:
	v_mov_b32_e32 v3, v7
	v_mov_b32_e32 v4, v8
.LBB55_14:
	s_cmp_eq_u32 s15, 1
	s_waitcnt vmcnt(0)
	v_sub_co_u32 v5, vcc_lo, v5, s18
	s_cselect_b32 s14, -1, 0
	s_cmpk_eq_i32 s13, 0x6f
	v_subrev_co_ci_u32_e64 v6, null, 0, v6, vcc_lo
	s_cselect_b32 s19, -1, 0
	s_cmpk_lg_i32 s13, 0x6f
	s_cselect_b32 s6, -1, 0
	s_cmp_lg_u32 s15, 1
	s_cbranch_scc0 .LBB55_18
; %bb.15:
	v_mov_b32_e32 v8, v6
	v_mov_b32_e32 v7, v5
	s_andn2_b32 vcc_lo, exec_lo, s6
	s_cbranch_vccnz .LBB55_17
; %bb.16:
	v_mul_lo_u32 v9, v6, s0
	v_mul_lo_u32 v10, v5, s1
	v_mad_u64_u32 v[7:8], null, v5, s0, 0
	v_add3_u32 v8, v8, v10, v9
.LBB55_17:
	s_cbranch_execz .LBB55_19
	s_branch .LBB55_22
.LBB55_18:
                                        ; implicit-def: $vgpr7_vgpr8
.LBB55_19:
	s_andn2_b32 vcc_lo, exec_lo, s19
	s_cbranch_vccnz .LBB55_21
; %bb.20:
	v_mul_lo_u32 v7, v6, s0
	v_mul_lo_u32 v8, v5, s1
	v_mad_u64_u32 v[5:6], null, v5, s0, 0
	v_add3_u32 v6, v6, v8, v7
.LBB55_21:
	v_mov_b32_e32 v8, v6
	v_mov_b32_e32 v7, v5
.LBB55_22:
	s_load_dwordx2 s[6:7], s[4:5], 0x60
	v_and_b32_e32 v5, 3, v0
	v_mov_b32_e32 v6, 0
	s_mov_b32 s12, exec_lo
	v_cmpx_gt_i64_e64 s[8:9], v[5:6]
	s_cbranch_execz .LBB55_26
; %bb.23:
	s_xor_b32 s3, s17, s3
	v_lshlrev_b64 v[7:8], 1, v[7:8]
	s_and_b32 s3, s3, exec_lo
	s_cselect_b32 s11, 0, s11
	s_cselect_b32 s10, 1, s10
	s_xor_b32 s3, s19, s14
	v_mad_u64_u32 v[9:10], null, s10, v5, 0
	s_and_b32 s3, s3, exec_lo
	s_cselect_b32 s14, s0, 1
	s_cselect_b32 s15, s1, 0
	v_mad_u64_u32 v[12:13], null, s14, v5, 0
	s_load_dwordx2 s[0:1], s[4:5], 0x38
	v_mov_b32_e32 v0, v10
	s_load_dwordx2 s[4:5], s[4:5], 0x48
	v_mov_b32_e32 v10, v13
	v_mad_u64_u32 v[13:14], null, s11, v5, v[0:1]
	v_mov_b32_e32 v0, 0
	s_lshl_b64 s[10:11], s[10:11], 3
	v_mad_u64_u32 v[14:15], null, s15, v5, v[10:11]
	v_lshlrev_b64 v[15:16], 1, v[3:4]
	v_mov_b32_e32 v3, v5
	v_mov_b32_e32 v10, v13
	;; [unrolled: 1-line block ×4, first 2 shown]
	v_lshlrev_b64 v[9:10], 1, v[9:10]
	v_lshlrev_b64 v[12:13], 1, v[12:13]
	v_add_co_u32 v6, vcc_lo, v9, v15
	v_add_co_ci_u32_e64 v9, null, v10, v16, vcc_lo
	v_add_co_u32 v10, vcc_lo, v12, v7
	v_add_co_ci_u32_e64 v12, null, v13, v8, vcc_lo
	s_waitcnt lgkmcnt(0)
	v_add_co_u32 v7, vcc_lo, s0, v6
	v_add_co_ci_u32_e64 v8, null, s1, v9, vcc_lo
	v_add_co_u32 v9, vcc_lo, s4, v10
	v_add_co_ci_u32_e64 v10, null, s5, v12, vcc_lo
	v_mov_b32_e32 v6, v0
	s_mov_b32 s1, 0
	s_lshl_b64 s[4:5], s[14:15], 3
	.p2align	6
.LBB55_24:                              ; =>This Inner Loop Header: Depth=1
	global_load_ushort v0, v[7:8], off
	global_load_ushort v12, v[9:10], off
	v_add_co_u32 v3, vcc_lo, v3, 4
	v_add_co_ci_u32_e64 v4, null, 0, v4, vcc_lo
	v_add_co_u32 v9, vcc_lo, v9, s4
	v_add_co_ci_u32_e64 v10, null, s5, v10, vcc_lo
	v_cmp_le_i64_e32 vcc_lo, s[8:9], v[3:4]
	v_add_co_u32 v7, s0, v7, s10
	v_add_co_ci_u32_e64 v8, null, s11, v8, s0
	s_or_b32 s1, vcc_lo, s1
	s_waitcnt vmcnt(0)
	v_mul_f16_e32 v0, v0, v12
	v_cvt_f32_f16_e32 v0, v0
	v_add_f32_e32 v6, v6, v0
	s_andn2_b32 exec_lo, exec_lo, s1
	s_cbranch_execnz .LBB55_24
; %bb.25:
	s_or_b32 exec_lo, exec_lo, s1
.LBB55_26:
	s_or_b32 exec_lo, exec_lo, s12
	v_lshlrev_b32_e32 v0, 4, v11
	s_mov_b32 s0, exec_lo
	v_lshl_or_b32 v3, v5, 2, v0
	ds_write_b32 v3, v6
	s_waitcnt lgkmcnt(0)
	s_barrier
	buffer_gl0_inv
	v_cmpx_gt_u32_e32 2, v5
	s_cbranch_execz .LBB55_28
; %bb.27:
	ds_read2_b32 v[6:7], v3 offset1:2
	s_waitcnt lgkmcnt(0)
	v_add_f32_e32 v4, v7, v6
	ds_write_b32 v3, v4
.LBB55_28:
	s_or_b32 exec_lo, exec_lo, s0
	v_cmp_eq_u32_e32 vcc_lo, 0, v5
	s_waitcnt lgkmcnt(0)
	s_barrier
	buffer_gl0_inv
	s_and_saveexec_b32 s0, vcc_lo
	s_cbranch_execz .LBB55_30
; %bb.29:
	ds_read2_b32 v[4:5], v3 offset1:1
	s_waitcnt lgkmcnt(0)
	v_add_f32_e32 v4, v5, v4
	ds_write_b32 v3, v4
.LBB55_30:
	s_or_b32 exec_lo, exec_lo, s0
	s_waitcnt lgkmcnt(0)
	s_barrier
	buffer_gl0_inv
	s_and_b32 exec_lo, exec_lo, vcc_lo
	s_cbranch_execz .LBB55_32
; %bb.31:
	v_lshlrev_b64 v[1:2], 2, v[1:2]
	ds_read_b32 v0, v0
	v_add_co_u32 v1, vcc_lo, s6, v1
	v_add_co_ci_u32_e64 v2, null, s7, v2, vcc_lo
	global_load_dword v3, v[1:2], off
	s_waitcnt lgkmcnt(0)
	v_mul_f32_e32 v0, s16, v0
	s_waitcnt vmcnt(0)
	v_fmac_f32_e32 v0, s2, v3
	global_store_dword v[1:2], v0, off
.LBB55_32:
	s_endpgm
	.section	.rodata,"a",@progbits
	.p2align	6, 0x0
	.amdhsa_kernel _ZN9rocsparseL17sddmm_coox_kernelILi512ELi4ELb0EfllDF16_DF16_fEEv20rocsparse_operation_S1_16rocsparse_order_S2_T4_S3_S3_T3_NS_24const_host_device_scalarIT2_EEPKT5_lPKT6_lS7_PT7_PKS4_SH_21rocsparse_index_base_b
		.amdhsa_group_segment_fixed_size 2048
		.amdhsa_private_segment_fixed_size 0
		.amdhsa_kernarg_size 128
		.amdhsa_user_sgpr_count 6
		.amdhsa_user_sgpr_private_segment_buffer 1
		.amdhsa_user_sgpr_dispatch_ptr 0
		.amdhsa_user_sgpr_queue_ptr 0
		.amdhsa_user_sgpr_kernarg_segment_ptr 1
		.amdhsa_user_sgpr_dispatch_id 0
		.amdhsa_user_sgpr_flat_scratch_init 0
		.amdhsa_user_sgpr_private_segment_size 0
		.amdhsa_wavefront_size32 1
		.amdhsa_uses_dynamic_stack 0
		.amdhsa_system_sgpr_private_segment_wavefront_offset 0
		.amdhsa_system_sgpr_workgroup_id_x 1
		.amdhsa_system_sgpr_workgroup_id_y 0
		.amdhsa_system_sgpr_workgroup_id_z 0
		.amdhsa_system_sgpr_workgroup_info 0
		.amdhsa_system_vgpr_workitem_id 0
		.amdhsa_next_free_vgpr 17
		.amdhsa_next_free_sgpr 20
		.amdhsa_reserve_vcc 1
		.amdhsa_reserve_flat_scratch 0
		.amdhsa_float_round_mode_32 0
		.amdhsa_float_round_mode_16_64 0
		.amdhsa_float_denorm_mode_32 3
		.amdhsa_float_denorm_mode_16_64 3
		.amdhsa_dx10_clamp 1
		.amdhsa_ieee_mode 1
		.amdhsa_fp16_overflow 0
		.amdhsa_workgroup_processor_mode 1
		.amdhsa_memory_ordered 1
		.amdhsa_forward_progress 1
		.amdhsa_shared_vgpr_count 0
		.amdhsa_exception_fp_ieee_invalid_op 0
		.amdhsa_exception_fp_denorm_src 0
		.amdhsa_exception_fp_ieee_div_zero 0
		.amdhsa_exception_fp_ieee_overflow 0
		.amdhsa_exception_fp_ieee_underflow 0
		.amdhsa_exception_fp_ieee_inexact 0
		.amdhsa_exception_int_div_zero 0
	.end_amdhsa_kernel
	.section	.text._ZN9rocsparseL17sddmm_coox_kernelILi512ELi4ELb0EfllDF16_DF16_fEEv20rocsparse_operation_S1_16rocsparse_order_S2_T4_S3_S3_T3_NS_24const_host_device_scalarIT2_EEPKT5_lPKT6_lS7_PT7_PKS4_SH_21rocsparse_index_base_b,"axG",@progbits,_ZN9rocsparseL17sddmm_coox_kernelILi512ELi4ELb0EfllDF16_DF16_fEEv20rocsparse_operation_S1_16rocsparse_order_S2_T4_S3_S3_T3_NS_24const_host_device_scalarIT2_EEPKT5_lPKT6_lS7_PT7_PKS4_SH_21rocsparse_index_base_b,comdat
.Lfunc_end55:
	.size	_ZN9rocsparseL17sddmm_coox_kernelILi512ELi4ELb0EfllDF16_DF16_fEEv20rocsparse_operation_S1_16rocsparse_order_S2_T4_S3_S3_T3_NS_24const_host_device_scalarIT2_EEPKT5_lPKT6_lS7_PT7_PKS4_SH_21rocsparse_index_base_b, .Lfunc_end55-_ZN9rocsparseL17sddmm_coox_kernelILi512ELi4ELb0EfllDF16_DF16_fEEv20rocsparse_operation_S1_16rocsparse_order_S2_T4_S3_S3_T3_NS_24const_host_device_scalarIT2_EEPKT5_lPKT6_lS7_PT7_PKS4_SH_21rocsparse_index_base_b
                                        ; -- End function
	.set _ZN9rocsparseL17sddmm_coox_kernelILi512ELi4ELb0EfllDF16_DF16_fEEv20rocsparse_operation_S1_16rocsparse_order_S2_T4_S3_S3_T3_NS_24const_host_device_scalarIT2_EEPKT5_lPKT6_lS7_PT7_PKS4_SH_21rocsparse_index_base_b.num_vgpr, 17
	.set _ZN9rocsparseL17sddmm_coox_kernelILi512ELi4ELb0EfllDF16_DF16_fEEv20rocsparse_operation_S1_16rocsparse_order_S2_T4_S3_S3_T3_NS_24const_host_device_scalarIT2_EEPKT5_lPKT6_lS7_PT7_PKS4_SH_21rocsparse_index_base_b.num_agpr, 0
	.set _ZN9rocsparseL17sddmm_coox_kernelILi512ELi4ELb0EfllDF16_DF16_fEEv20rocsparse_operation_S1_16rocsparse_order_S2_T4_S3_S3_T3_NS_24const_host_device_scalarIT2_EEPKT5_lPKT6_lS7_PT7_PKS4_SH_21rocsparse_index_base_b.numbered_sgpr, 20
	.set _ZN9rocsparseL17sddmm_coox_kernelILi512ELi4ELb0EfllDF16_DF16_fEEv20rocsparse_operation_S1_16rocsparse_order_S2_T4_S3_S3_T3_NS_24const_host_device_scalarIT2_EEPKT5_lPKT6_lS7_PT7_PKS4_SH_21rocsparse_index_base_b.num_named_barrier, 0
	.set _ZN9rocsparseL17sddmm_coox_kernelILi512ELi4ELb0EfllDF16_DF16_fEEv20rocsparse_operation_S1_16rocsparse_order_S2_T4_S3_S3_T3_NS_24const_host_device_scalarIT2_EEPKT5_lPKT6_lS7_PT7_PKS4_SH_21rocsparse_index_base_b.private_seg_size, 0
	.set _ZN9rocsparseL17sddmm_coox_kernelILi512ELi4ELb0EfllDF16_DF16_fEEv20rocsparse_operation_S1_16rocsparse_order_S2_T4_S3_S3_T3_NS_24const_host_device_scalarIT2_EEPKT5_lPKT6_lS7_PT7_PKS4_SH_21rocsparse_index_base_b.uses_vcc, 1
	.set _ZN9rocsparseL17sddmm_coox_kernelILi512ELi4ELb0EfllDF16_DF16_fEEv20rocsparse_operation_S1_16rocsparse_order_S2_T4_S3_S3_T3_NS_24const_host_device_scalarIT2_EEPKT5_lPKT6_lS7_PT7_PKS4_SH_21rocsparse_index_base_b.uses_flat_scratch, 0
	.set _ZN9rocsparseL17sddmm_coox_kernelILi512ELi4ELb0EfllDF16_DF16_fEEv20rocsparse_operation_S1_16rocsparse_order_S2_T4_S3_S3_T3_NS_24const_host_device_scalarIT2_EEPKT5_lPKT6_lS7_PT7_PKS4_SH_21rocsparse_index_base_b.has_dyn_sized_stack, 0
	.set _ZN9rocsparseL17sddmm_coox_kernelILi512ELi4ELb0EfllDF16_DF16_fEEv20rocsparse_operation_S1_16rocsparse_order_S2_T4_S3_S3_T3_NS_24const_host_device_scalarIT2_EEPKT5_lPKT6_lS7_PT7_PKS4_SH_21rocsparse_index_base_b.has_recursion, 0
	.set _ZN9rocsparseL17sddmm_coox_kernelILi512ELi4ELb0EfllDF16_DF16_fEEv20rocsparse_operation_S1_16rocsparse_order_S2_T4_S3_S3_T3_NS_24const_host_device_scalarIT2_EEPKT5_lPKT6_lS7_PT7_PKS4_SH_21rocsparse_index_base_b.has_indirect_call, 0
	.section	.AMDGPU.csdata,"",@progbits
; Kernel info:
; codeLenInByte = 1160
; TotalNumSgprs: 22
; NumVgprs: 17
; ScratchSize: 0
; MemoryBound: 0
; FloatMode: 240
; IeeeMode: 1
; LDSByteSize: 2048 bytes/workgroup (compile time only)
; SGPRBlocks: 0
; VGPRBlocks: 2
; NumSGPRsForWavesPerEU: 22
; NumVGPRsForWavesPerEU: 17
; Occupancy: 16
; WaveLimiterHint : 0
; COMPUTE_PGM_RSRC2:SCRATCH_EN: 0
; COMPUTE_PGM_RSRC2:USER_SGPR: 6
; COMPUTE_PGM_RSRC2:TRAP_HANDLER: 0
; COMPUTE_PGM_RSRC2:TGID_X_EN: 1
; COMPUTE_PGM_RSRC2:TGID_Y_EN: 0
; COMPUTE_PGM_RSRC2:TGID_Z_EN: 0
; COMPUTE_PGM_RSRC2:TIDIG_COMP_CNT: 0
	.section	.text._ZN9rocsparseL17sddmm_coox_kernelILi512ELi2ELb0EfllDF16_DF16_fEEv20rocsparse_operation_S1_16rocsparse_order_S2_T4_S3_S3_T3_NS_24const_host_device_scalarIT2_EEPKT5_lPKT6_lS7_PT7_PKS4_SH_21rocsparse_index_base_b,"axG",@progbits,_ZN9rocsparseL17sddmm_coox_kernelILi512ELi2ELb0EfllDF16_DF16_fEEv20rocsparse_operation_S1_16rocsparse_order_S2_T4_S3_S3_T3_NS_24const_host_device_scalarIT2_EEPKT5_lPKT6_lS7_PT7_PKS4_SH_21rocsparse_index_base_b,comdat
	.globl	_ZN9rocsparseL17sddmm_coox_kernelILi512ELi2ELb0EfllDF16_DF16_fEEv20rocsparse_operation_S1_16rocsparse_order_S2_T4_S3_S3_T3_NS_24const_host_device_scalarIT2_EEPKT5_lPKT6_lS7_PT7_PKS4_SH_21rocsparse_index_base_b ; -- Begin function _ZN9rocsparseL17sddmm_coox_kernelILi512ELi2ELb0EfllDF16_DF16_fEEv20rocsparse_operation_S1_16rocsparse_order_S2_T4_S3_S3_T3_NS_24const_host_device_scalarIT2_EEPKT5_lPKT6_lS7_PT7_PKS4_SH_21rocsparse_index_base_b
	.p2align	8
	.type	_ZN9rocsparseL17sddmm_coox_kernelILi512ELi2ELb0EfllDF16_DF16_fEEv20rocsparse_operation_S1_16rocsparse_order_S2_T4_S3_S3_T3_NS_24const_host_device_scalarIT2_EEPKT5_lPKT6_lS7_PT7_PKS4_SH_21rocsparse_index_base_b,@function
_ZN9rocsparseL17sddmm_coox_kernelILi512ELi2ELb0EfllDF16_DF16_fEEv20rocsparse_operation_S1_16rocsparse_order_S2_T4_S3_S3_T3_NS_24const_host_device_scalarIT2_EEPKT5_lPKT6_lS7_PT7_PKS4_SH_21rocsparse_index_base_b: ; @_ZN9rocsparseL17sddmm_coox_kernelILi512ELi2ELb0EfllDF16_DF16_fEEv20rocsparse_operation_S1_16rocsparse_order_S2_T4_S3_S3_T3_NS_24const_host_device_scalarIT2_EEPKT5_lPKT6_lS7_PT7_PKS4_SH_21rocsparse_index_base_b
; %bb.0:
	s_clause 0x2
	s_load_dwordx2 s[18:19], s[4:5], 0x78
	s_load_dwordx2 s[16:17], s[4:5], 0x30
	s_load_dwordx4 s[0:3], s[4:5], 0x50
	s_waitcnt lgkmcnt(0)
	s_bitcmp1_b32 s19, 0
	s_cselect_b32 s7, -1, 0
	s_and_b32 vcc_lo, exec_lo, s7
	s_xor_b32 s7, s7, -1
	s_cbranch_vccnz .LBB56_2
; %bb.1:
	s_load_dword s16, s[16:17], 0x0
.LBB56_2:
	s_andn2_b32 vcc_lo, exec_lo, s7
	s_cbranch_vccnz .LBB56_4
; %bb.3:
	s_load_dword s2, s[2:3], 0x0
.LBB56_4:
	s_waitcnt lgkmcnt(0)
	v_cmp_eq_f32_e64 s3, s16, 0
	v_cmp_eq_f32_e64 s7, s2, 1.0
	s_and_b32 s3, s3, s7
	s_and_b32 vcc_lo, exec_lo, s3
	s_cbranch_vccnz .LBB56_30
; %bb.5:
	s_load_dwordx4 s[8:11], s[4:5], 0x20
	v_lshrrev_b32_e32 v11, 1, v0
	v_mov_b32_e32 v2, 0
	s_mov_b32 s3, exec_lo
	v_lshl_or_b32 v1, s6, 8, v11
	s_waitcnt lgkmcnt(0)
	v_cmpx_gt_i64_e64 s[10:11], v[1:2]
	s_cbranch_execz .LBB56_30
; %bb.6:
	s_load_dwordx4 s[12:15], s[4:5], 0x68
	v_lshlrev_b64 v[3:4], 3, v[1:2]
	s_waitcnt lgkmcnt(0)
	v_add_co_u32 v5, vcc_lo, s12, v3
	v_add_co_ci_u32_e64 v6, null, s13, v4, vcc_lo
	v_add_co_u32 v3, vcc_lo, s14, v3
	v_add_co_ci_u32_e64 v4, null, s15, v4, vcc_lo
	global_load_dwordx2 v[7:8], v[5:6], off
	global_load_dwordx2 v[5:6], v[3:4], off
	s_clause 0x1
	s_load_dwordx4 s[12:15], s[4:5], 0x0
	s_load_dwordx2 s[6:7], s[4:5], 0x40
	s_waitcnt lgkmcnt(0)
	s_cmp_eq_u32 s14, 1
	s_cselect_b32 s3, -1, 0
	s_cmpk_eq_i32 s12, 0x6f
	s_cselect_b32 s17, -1, 0
	s_cmpk_lg_i32 s12, 0x6f
	s_cselect_b32 s10, -1, 0
	s_cmp_lg_u32 s14, 1
	s_waitcnt vmcnt(1)
	v_sub_co_u32 v7, vcc_lo, v7, s18
	v_subrev_co_ci_u32_e64 v8, null, 0, v8, vcc_lo
	s_cbranch_scc0 .LBB56_10
; %bb.7:
	v_mov_b32_e32 v3, v7
	v_mov_b32_e32 v4, v8
	s_andn2_b32 vcc_lo, exec_lo, s17
	s_cbranch_vccnz .LBB56_9
; %bb.8:
	v_mul_lo_u32 v9, v8, s6
	v_mul_lo_u32 v10, v7, s7
	v_mad_u64_u32 v[3:4], null, v7, s6, 0
	v_add3_u32 v4, v4, v10, v9
.LBB56_9:
	s_cbranch_execz .LBB56_11
	s_branch .LBB56_14
.LBB56_10:
                                        ; implicit-def: $vgpr3_vgpr4
.LBB56_11:
	s_andn2_b32 vcc_lo, exec_lo, s10
	s_cbranch_vccnz .LBB56_13
; %bb.12:
	v_mul_lo_u32 v3, v8, s6
	v_mul_lo_u32 v4, v7, s7
	v_mad_u64_u32 v[7:8], null, v7, s6, 0
	v_add3_u32 v8, v8, v4, v3
.LBB56_13:
	v_mov_b32_e32 v3, v7
	v_mov_b32_e32 v4, v8
.LBB56_14:
	s_cmp_eq_u32 s15, 1
	s_waitcnt vmcnt(0)
	v_sub_co_u32 v5, vcc_lo, v5, s18
	s_cselect_b32 s14, -1, 0
	s_cmpk_eq_i32 s13, 0x6f
	v_subrev_co_ci_u32_e64 v6, null, 0, v6, vcc_lo
	s_cselect_b32 s19, -1, 0
	s_cmpk_lg_i32 s13, 0x6f
	s_cselect_b32 s10, -1, 0
	s_cmp_lg_u32 s15, 1
	s_cbranch_scc0 .LBB56_18
; %bb.15:
	v_mov_b32_e32 v8, v6
	v_mov_b32_e32 v7, v5
	s_andn2_b32 vcc_lo, exec_lo, s10
	s_cbranch_vccnz .LBB56_17
; %bb.16:
	v_mul_lo_u32 v9, v6, s0
	v_mul_lo_u32 v10, v5, s1
	v_mad_u64_u32 v[7:8], null, v5, s0, 0
	v_add3_u32 v8, v8, v10, v9
.LBB56_17:
	s_cbranch_execz .LBB56_19
	s_branch .LBB56_22
.LBB56_18:
                                        ; implicit-def: $vgpr7_vgpr8
.LBB56_19:
	s_andn2_b32 vcc_lo, exec_lo, s19
	s_cbranch_vccnz .LBB56_21
; %bb.20:
	v_mul_lo_u32 v7, v6, s0
	v_mul_lo_u32 v8, v5, s1
	v_mad_u64_u32 v[5:6], null, v5, s0, 0
	v_add3_u32 v6, v6, v8, v7
.LBB56_21:
	v_mov_b32_e32 v8, v6
	v_mov_b32_e32 v7, v5
.LBB56_22:
	s_load_dwordx2 s[10:11], s[4:5], 0x60
	v_and_b32_e32 v5, 1, v0
	v_mov_b32_e32 v6, 0
	s_mov_b32 s12, exec_lo
	v_cmpx_gt_i64_e64 s[8:9], v[5:6]
	s_cbranch_execz .LBB56_26
; %bb.23:
	s_xor_b32 s3, s17, s3
	v_lshlrev_b64 v[7:8], 1, v[7:8]
	s_and_b32 s3, s3, exec_lo
	s_cselect_b32 s7, 0, s7
	s_cselect_b32 s6, 1, s6
	s_xor_b32 s3, s19, s14
	s_load_dwordx2 s[14:15], s[4:5], 0x48
	s_and_b32 s3, s3, exec_lo
	s_cselect_b32 s19, s1, 0
	s_cselect_b32 s18, s0, 1
	v_mul_lo_u32 v10, s19, v5
	v_mul_lo_u32 v9, s18, v5
	s_load_dwordx2 s[0:1], s[4:5], 0x38
	v_mul_lo_u32 v13, s7, v5
	v_mul_lo_u32 v12, s6, v5
	v_lshlrev_b64 v[14:15], 1, v[3:4]
	s_lshl_b64 s[4:5], s[18:19], 2
	s_lshl_b64 s[6:7], s[6:7], 2
	v_lshlrev_b64 v[9:10], 1, v[9:10]
	v_add_co_u32 v0, vcc_lo, v9, v7
	v_add_co_ci_u32_e64 v4, null, v10, v8, vcc_lo
	v_lshlrev_b64 v[7:8], 1, v[12:13]
	s_waitcnt lgkmcnt(0)
	v_add_co_u32 v3, vcc_lo, s14, v0
	v_add_co_ci_u32_e64 v4, null, s15, v4, vcc_lo
	v_mov_b32_e32 v12, 0
	v_add_co_u32 v0, vcc_lo, v7, v14
	v_add_co_ci_u32_e64 v8, null, v8, v15, vcc_lo
	v_mov_b32_e32 v10, v6
	;; [unrolled: 3-line block ×3, first 2 shown]
	v_mov_b32_e32 v6, v12
	s_mov_b32 s1, 0
	.p2align	6
.LBB56_24:                              ; =>This Inner Loop Header: Depth=1
	global_load_ushort v0, v[7:8], off
	global_load_ushort v12, v[3:4], off
	v_add_co_u32 v9, vcc_lo, v9, 2
	v_add_co_ci_u32_e64 v10, null, 0, v10, vcc_lo
	v_add_co_u32 v3, vcc_lo, v3, s4
	v_add_co_ci_u32_e64 v4, null, s5, v4, vcc_lo
	v_cmp_le_i64_e32 vcc_lo, s[8:9], v[9:10]
	v_add_co_u32 v7, s0, v7, s6
	v_add_co_ci_u32_e64 v8, null, s7, v8, s0
	s_or_b32 s1, vcc_lo, s1
	s_waitcnt vmcnt(0)
	v_mul_f16_e32 v0, v0, v12
	v_cvt_f32_f16_e32 v0, v0
	v_add_f32_e32 v6, v6, v0
	s_andn2_b32 exec_lo, exec_lo, s1
	s_cbranch_execnz .LBB56_24
; %bb.25:
	s_or_b32 exec_lo, exec_lo, s1
.LBB56_26:
	s_or_b32 exec_lo, exec_lo, s12
	v_lshlrev_b32_e32 v0, 3, v11
	v_cmp_eq_u32_e32 vcc_lo, 0, v5
	v_lshl_or_b32 v3, v5, 2, v0
	ds_write_b32 v3, v6
	s_waitcnt lgkmcnt(0)
	s_barrier
	buffer_gl0_inv
	s_and_saveexec_b32 s0, vcc_lo
	s_cbranch_execz .LBB56_28
; %bb.27:
	ds_read_b32 v4, v0 offset:4
	ds_read_b32 v5, v3
	s_waitcnt lgkmcnt(0)
	v_add_f32_e32 v4, v4, v5
	ds_write_b32 v3, v4
.LBB56_28:
	s_or_b32 exec_lo, exec_lo, s0
	s_waitcnt lgkmcnt(0)
	s_barrier
	buffer_gl0_inv
	s_and_b32 exec_lo, exec_lo, vcc_lo
	s_cbranch_execz .LBB56_30
; %bb.29:
	v_lshlrev_b64 v[1:2], 2, v[1:2]
	ds_read_b32 v0, v0
	v_add_co_u32 v1, vcc_lo, s10, v1
	v_add_co_ci_u32_e64 v2, null, s11, v2, vcc_lo
	global_load_dword v3, v[1:2], off
	s_waitcnt lgkmcnt(0)
	v_mul_f32_e32 v0, s16, v0
	s_waitcnt vmcnt(0)
	v_fmac_f32_e32 v0, s2, v3
	global_store_dword v[1:2], v0, off
.LBB56_30:
	s_endpgm
	.section	.rodata,"a",@progbits
	.p2align	6, 0x0
	.amdhsa_kernel _ZN9rocsparseL17sddmm_coox_kernelILi512ELi2ELb0EfllDF16_DF16_fEEv20rocsparse_operation_S1_16rocsparse_order_S2_T4_S3_S3_T3_NS_24const_host_device_scalarIT2_EEPKT5_lPKT6_lS7_PT7_PKS4_SH_21rocsparse_index_base_b
		.amdhsa_group_segment_fixed_size 2048
		.amdhsa_private_segment_fixed_size 0
		.amdhsa_kernarg_size 128
		.amdhsa_user_sgpr_count 6
		.amdhsa_user_sgpr_private_segment_buffer 1
		.amdhsa_user_sgpr_dispatch_ptr 0
		.amdhsa_user_sgpr_queue_ptr 0
		.amdhsa_user_sgpr_kernarg_segment_ptr 1
		.amdhsa_user_sgpr_dispatch_id 0
		.amdhsa_user_sgpr_flat_scratch_init 0
		.amdhsa_user_sgpr_private_segment_size 0
		.amdhsa_wavefront_size32 1
		.amdhsa_uses_dynamic_stack 0
		.amdhsa_system_sgpr_private_segment_wavefront_offset 0
		.amdhsa_system_sgpr_workgroup_id_x 1
		.amdhsa_system_sgpr_workgroup_id_y 0
		.amdhsa_system_sgpr_workgroup_id_z 0
		.amdhsa_system_sgpr_workgroup_info 0
		.amdhsa_system_vgpr_workitem_id 0
		.amdhsa_next_free_vgpr 16
		.amdhsa_next_free_sgpr 20
		.amdhsa_reserve_vcc 1
		.amdhsa_reserve_flat_scratch 0
		.amdhsa_float_round_mode_32 0
		.amdhsa_float_round_mode_16_64 0
		.amdhsa_float_denorm_mode_32 3
		.amdhsa_float_denorm_mode_16_64 3
		.amdhsa_dx10_clamp 1
		.amdhsa_ieee_mode 1
		.amdhsa_fp16_overflow 0
		.amdhsa_workgroup_processor_mode 1
		.amdhsa_memory_ordered 1
		.amdhsa_forward_progress 1
		.amdhsa_shared_vgpr_count 0
		.amdhsa_exception_fp_ieee_invalid_op 0
		.amdhsa_exception_fp_denorm_src 0
		.amdhsa_exception_fp_ieee_div_zero 0
		.amdhsa_exception_fp_ieee_overflow 0
		.amdhsa_exception_fp_ieee_underflow 0
		.amdhsa_exception_fp_ieee_inexact 0
		.amdhsa_exception_int_div_zero 0
	.end_amdhsa_kernel
	.section	.text._ZN9rocsparseL17sddmm_coox_kernelILi512ELi2ELb0EfllDF16_DF16_fEEv20rocsparse_operation_S1_16rocsparse_order_S2_T4_S3_S3_T3_NS_24const_host_device_scalarIT2_EEPKT5_lPKT6_lS7_PT7_PKS4_SH_21rocsparse_index_base_b,"axG",@progbits,_ZN9rocsparseL17sddmm_coox_kernelILi512ELi2ELb0EfllDF16_DF16_fEEv20rocsparse_operation_S1_16rocsparse_order_S2_T4_S3_S3_T3_NS_24const_host_device_scalarIT2_EEPKT5_lPKT6_lS7_PT7_PKS4_SH_21rocsparse_index_base_b,comdat
.Lfunc_end56:
	.size	_ZN9rocsparseL17sddmm_coox_kernelILi512ELi2ELb0EfllDF16_DF16_fEEv20rocsparse_operation_S1_16rocsparse_order_S2_T4_S3_S3_T3_NS_24const_host_device_scalarIT2_EEPKT5_lPKT6_lS7_PT7_PKS4_SH_21rocsparse_index_base_b, .Lfunc_end56-_ZN9rocsparseL17sddmm_coox_kernelILi512ELi2ELb0EfllDF16_DF16_fEEv20rocsparse_operation_S1_16rocsparse_order_S2_T4_S3_S3_T3_NS_24const_host_device_scalarIT2_EEPKT5_lPKT6_lS7_PT7_PKS4_SH_21rocsparse_index_base_b
                                        ; -- End function
	.set _ZN9rocsparseL17sddmm_coox_kernelILi512ELi2ELb0EfllDF16_DF16_fEEv20rocsparse_operation_S1_16rocsparse_order_S2_T4_S3_S3_T3_NS_24const_host_device_scalarIT2_EEPKT5_lPKT6_lS7_PT7_PKS4_SH_21rocsparse_index_base_b.num_vgpr, 16
	.set _ZN9rocsparseL17sddmm_coox_kernelILi512ELi2ELb0EfllDF16_DF16_fEEv20rocsparse_operation_S1_16rocsparse_order_S2_T4_S3_S3_T3_NS_24const_host_device_scalarIT2_EEPKT5_lPKT6_lS7_PT7_PKS4_SH_21rocsparse_index_base_b.num_agpr, 0
	.set _ZN9rocsparseL17sddmm_coox_kernelILi512ELi2ELb0EfllDF16_DF16_fEEv20rocsparse_operation_S1_16rocsparse_order_S2_T4_S3_S3_T3_NS_24const_host_device_scalarIT2_EEPKT5_lPKT6_lS7_PT7_PKS4_SH_21rocsparse_index_base_b.numbered_sgpr, 20
	.set _ZN9rocsparseL17sddmm_coox_kernelILi512ELi2ELb0EfllDF16_DF16_fEEv20rocsparse_operation_S1_16rocsparse_order_S2_T4_S3_S3_T3_NS_24const_host_device_scalarIT2_EEPKT5_lPKT6_lS7_PT7_PKS4_SH_21rocsparse_index_base_b.num_named_barrier, 0
	.set _ZN9rocsparseL17sddmm_coox_kernelILi512ELi2ELb0EfllDF16_DF16_fEEv20rocsparse_operation_S1_16rocsparse_order_S2_T4_S3_S3_T3_NS_24const_host_device_scalarIT2_EEPKT5_lPKT6_lS7_PT7_PKS4_SH_21rocsparse_index_base_b.private_seg_size, 0
	.set _ZN9rocsparseL17sddmm_coox_kernelILi512ELi2ELb0EfllDF16_DF16_fEEv20rocsparse_operation_S1_16rocsparse_order_S2_T4_S3_S3_T3_NS_24const_host_device_scalarIT2_EEPKT5_lPKT6_lS7_PT7_PKS4_SH_21rocsparse_index_base_b.uses_vcc, 1
	.set _ZN9rocsparseL17sddmm_coox_kernelILi512ELi2ELb0EfllDF16_DF16_fEEv20rocsparse_operation_S1_16rocsparse_order_S2_T4_S3_S3_T3_NS_24const_host_device_scalarIT2_EEPKT5_lPKT6_lS7_PT7_PKS4_SH_21rocsparse_index_base_b.uses_flat_scratch, 0
	.set _ZN9rocsparseL17sddmm_coox_kernelILi512ELi2ELb0EfllDF16_DF16_fEEv20rocsparse_operation_S1_16rocsparse_order_S2_T4_S3_S3_T3_NS_24const_host_device_scalarIT2_EEPKT5_lPKT6_lS7_PT7_PKS4_SH_21rocsparse_index_base_b.has_dyn_sized_stack, 0
	.set _ZN9rocsparseL17sddmm_coox_kernelILi512ELi2ELb0EfllDF16_DF16_fEEv20rocsparse_operation_S1_16rocsparse_order_S2_T4_S3_S3_T3_NS_24const_host_device_scalarIT2_EEPKT5_lPKT6_lS7_PT7_PKS4_SH_21rocsparse_index_base_b.has_recursion, 0
	.set _ZN9rocsparseL17sddmm_coox_kernelILi512ELi2ELb0EfllDF16_DF16_fEEv20rocsparse_operation_S1_16rocsparse_order_S2_T4_S3_S3_T3_NS_24const_host_device_scalarIT2_EEPKT5_lPKT6_lS7_PT7_PKS4_SH_21rocsparse_index_base_b.has_indirect_call, 0
	.section	.AMDGPU.csdata,"",@progbits
; Kernel info:
; codeLenInByte = 1112
; TotalNumSgprs: 22
; NumVgprs: 16
; ScratchSize: 0
; MemoryBound: 0
; FloatMode: 240
; IeeeMode: 1
; LDSByteSize: 2048 bytes/workgroup (compile time only)
; SGPRBlocks: 0
; VGPRBlocks: 1
; NumSGPRsForWavesPerEU: 22
; NumVGPRsForWavesPerEU: 16
; Occupancy: 16
; WaveLimiterHint : 0
; COMPUTE_PGM_RSRC2:SCRATCH_EN: 0
; COMPUTE_PGM_RSRC2:USER_SGPR: 6
; COMPUTE_PGM_RSRC2:TRAP_HANDLER: 0
; COMPUTE_PGM_RSRC2:TGID_X_EN: 1
; COMPUTE_PGM_RSRC2:TGID_Y_EN: 0
; COMPUTE_PGM_RSRC2:TGID_Z_EN: 0
; COMPUTE_PGM_RSRC2:TIDIG_COMP_CNT: 0
	.section	.text._ZN9rocsparseL17sddmm_coox_kernelILi512ELi1ELb0EfllDF16_DF16_fEEv20rocsparse_operation_S1_16rocsparse_order_S2_T4_S3_S3_T3_NS_24const_host_device_scalarIT2_EEPKT5_lPKT6_lS7_PT7_PKS4_SH_21rocsparse_index_base_b,"axG",@progbits,_ZN9rocsparseL17sddmm_coox_kernelILi512ELi1ELb0EfllDF16_DF16_fEEv20rocsparse_operation_S1_16rocsparse_order_S2_T4_S3_S3_T3_NS_24const_host_device_scalarIT2_EEPKT5_lPKT6_lS7_PT7_PKS4_SH_21rocsparse_index_base_b,comdat
	.globl	_ZN9rocsparseL17sddmm_coox_kernelILi512ELi1ELb0EfllDF16_DF16_fEEv20rocsparse_operation_S1_16rocsparse_order_S2_T4_S3_S3_T3_NS_24const_host_device_scalarIT2_EEPKT5_lPKT6_lS7_PT7_PKS4_SH_21rocsparse_index_base_b ; -- Begin function _ZN9rocsparseL17sddmm_coox_kernelILi512ELi1ELb0EfllDF16_DF16_fEEv20rocsparse_operation_S1_16rocsparse_order_S2_T4_S3_S3_T3_NS_24const_host_device_scalarIT2_EEPKT5_lPKT6_lS7_PT7_PKS4_SH_21rocsparse_index_base_b
	.p2align	8
	.type	_ZN9rocsparseL17sddmm_coox_kernelILi512ELi1ELb0EfllDF16_DF16_fEEv20rocsparse_operation_S1_16rocsparse_order_S2_T4_S3_S3_T3_NS_24const_host_device_scalarIT2_EEPKT5_lPKT6_lS7_PT7_PKS4_SH_21rocsparse_index_base_b,@function
_ZN9rocsparseL17sddmm_coox_kernelILi512ELi1ELb0EfllDF16_DF16_fEEv20rocsparse_operation_S1_16rocsparse_order_S2_T4_S3_S3_T3_NS_24const_host_device_scalarIT2_EEPKT5_lPKT6_lS7_PT7_PKS4_SH_21rocsparse_index_base_b: ; @_ZN9rocsparseL17sddmm_coox_kernelILi512ELi1ELb0EfllDF16_DF16_fEEv20rocsparse_operation_S1_16rocsparse_order_S2_T4_S3_S3_T3_NS_24const_host_device_scalarIT2_EEPKT5_lPKT6_lS7_PT7_PKS4_SH_21rocsparse_index_base_b
; %bb.0:
	s_clause 0x2
	s_load_dwordx2 s[18:19], s[4:5], 0x78
	s_load_dwordx2 s[16:17], s[4:5], 0x30
	s_load_dwordx4 s[0:3], s[4:5], 0x50
	s_waitcnt lgkmcnt(0)
	s_bitcmp1_b32 s19, 0
	s_cselect_b32 s7, -1, 0
	s_and_b32 vcc_lo, exec_lo, s7
	s_xor_b32 s7, s7, -1
	s_cbranch_vccnz .LBB57_2
; %bb.1:
	s_load_dword s16, s[16:17], 0x0
.LBB57_2:
	s_andn2_b32 vcc_lo, exec_lo, s7
	s_cbranch_vccnz .LBB57_4
; %bb.3:
	s_load_dword s2, s[2:3], 0x0
.LBB57_4:
	s_waitcnt lgkmcnt(0)
	v_cmp_eq_f32_e64 s3, s16, 0
	v_cmp_eq_f32_e64 s7, s2, 1.0
	s_and_b32 s3, s3, s7
	s_and_b32 vcc_lo, exec_lo, s3
	s_cbranch_vccnz .LBB57_27
; %bb.5:
	s_load_dwordx4 s[8:11], s[4:5], 0x20
	v_lshl_or_b32 v1, s6, 9, v0
	v_mov_b32_e32 v2, 0
	s_mov_b32 s3, exec_lo
	s_waitcnt lgkmcnt(0)
	v_cmpx_gt_i64_e64 s[10:11], v[1:2]
	s_cbranch_execz .LBB57_27
; %bb.6:
	s_load_dwordx4 s[12:15], s[4:5], 0x68
	v_lshlrev_b64 v[3:4], 3, v[1:2]
	s_waitcnt lgkmcnt(0)
	v_add_co_u32 v5, vcc_lo, s12, v3
	v_add_co_ci_u32_e64 v6, null, s13, v4, vcc_lo
	v_add_co_u32 v3, vcc_lo, s14, v3
	v_add_co_ci_u32_e64 v4, null, s15, v4, vcc_lo
	global_load_dwordx2 v[7:8], v[5:6], off
	global_load_dwordx2 v[5:6], v[3:4], off
	s_clause 0x1
	s_load_dwordx4 s[12:15], s[4:5], 0x0
	s_load_dwordx2 s[6:7], s[4:5], 0x40
	s_waitcnt lgkmcnt(0)
	s_cmp_eq_u32 s14, 1
	s_cselect_b32 s3, -1, 0
	s_cmpk_eq_i32 s12, 0x6f
	s_cselect_b32 s17, -1, 0
	s_cmpk_lg_i32 s12, 0x6f
	s_cselect_b32 s10, -1, 0
	s_cmp_lg_u32 s14, 1
	s_waitcnt vmcnt(1)
	v_sub_co_u32 v7, vcc_lo, v7, s18
	v_subrev_co_ci_u32_e64 v8, null, 0, v8, vcc_lo
	s_cbranch_scc0 .LBB57_10
; %bb.7:
	v_mov_b32_e32 v3, v7
	v_mov_b32_e32 v4, v8
	s_andn2_b32 vcc_lo, exec_lo, s17
	s_cbranch_vccnz .LBB57_9
; %bb.8:
	v_mul_lo_u32 v9, v8, s6
	v_mul_lo_u32 v10, v7, s7
	v_mad_u64_u32 v[3:4], null, v7, s6, 0
	v_add3_u32 v4, v4, v10, v9
.LBB57_9:
	s_cbranch_execz .LBB57_11
	s_branch .LBB57_14
.LBB57_10:
                                        ; implicit-def: $vgpr3_vgpr4
.LBB57_11:
	s_andn2_b32 vcc_lo, exec_lo, s10
	s_cbranch_vccnz .LBB57_13
; %bb.12:
	v_mul_lo_u32 v3, v8, s6
	v_mul_lo_u32 v4, v7, s7
	v_mad_u64_u32 v[7:8], null, v7, s6, 0
	v_add3_u32 v8, v8, v4, v3
.LBB57_13:
	v_mov_b32_e32 v3, v7
	v_mov_b32_e32 v4, v8
.LBB57_14:
	s_cmp_eq_u32 s15, 1
	s_waitcnt vmcnt(0)
	v_sub_co_u32 v5, vcc_lo, v5, s18
	s_cselect_b32 s12, -1, 0
	s_cmpk_eq_i32 s13, 0x6f
	v_subrev_co_ci_u32_e64 v6, null, 0, v6, vcc_lo
	s_cselect_b32 s14, -1, 0
	s_cmpk_lg_i32 s13, 0x6f
	s_cselect_b32 s10, -1, 0
	s_cmp_lg_u32 s15, 1
	s_cbranch_scc0 .LBB57_21
; %bb.15:
	v_mov_b32_e32 v8, v6
	v_mov_b32_e32 v7, v5
	s_andn2_b32 vcc_lo, exec_lo, s10
	s_cbranch_vccnz .LBB57_17
; %bb.16:
	v_mul_lo_u32 v9, v6, s0
	v_mul_lo_u32 v10, v5, s1
	v_mad_u64_u32 v[7:8], null, v5, s0, 0
	v_add3_u32 v8, v8, v10, v9
.LBB57_17:
	s_cbranch_execz .LBB57_22
; %bb.18:
	s_load_dwordx2 s[10:11], s[4:5], 0x60
	v_cmp_lt_i64_e64 s13, s[8:9], 1
	s_and_b32 vcc_lo, exec_lo, s13
	s_cbranch_vccnz .LBB57_25
.LBB57_19:
	s_clause 0x1
	s_load_dwordx2 s[18:19], s[4:5], 0x48
	s_load_dwordx2 s[4:5], s[4:5], 0x38
	v_lshlrev_b64 v[5:6], 1, v[7:8]
	v_lshlrev_b64 v[7:8], 1, v[3:4]
	s_xor_b32 s3, s17, s3
	s_and_b32 s3, s3, exec_lo
	s_cselect_b32 s7, 0, s7
	s_cselect_b32 s6, 1, s6
	s_xor_b32 s3, s14, s12
	s_and_b32 s3, s3, exec_lo
	s_cselect_b32 s1, s1, 0
	s_cselect_b32 s0, s0, 1
	s_lshl_b64 s[0:1], s[0:1], 1
	s_waitcnt lgkmcnt(0)
	v_add_co_u32 v3, vcc_lo, s18, v5
	v_add_co_ci_u32_e64 v4, null, s19, v6, vcc_lo
	v_add_co_u32 v5, vcc_lo, s4, v7
	v_add_co_ci_u32_e64 v6, null, s5, v8, vcc_lo
	v_mov_b32_e32 v7, 0
	s_lshl_b64 s[4:5], s[6:7], 1
	.p2align	6
.LBB57_20:                              ; =>This Inner Loop Header: Depth=1
	global_load_ushort v8, v[5:6], off
	global_load_ushort v9, v[3:4], off
	v_add_co_u32 v3, vcc_lo, v3, s0
	v_add_co_ci_u32_e64 v4, null, s1, v4, vcc_lo
	v_add_co_u32 v5, vcc_lo, v5, s4
	s_add_u32 s8, s8, -1
	v_add_co_ci_u32_e64 v6, null, s5, v6, vcc_lo
	s_addc_u32 s9, s9, -1
	s_cmp_eq_u64 s[8:9], 0
	s_waitcnt vmcnt(0)
	v_mul_f16_e32 v8, v8, v9
	v_cvt_f32_f16_e32 v8, v8
	v_add_f32_e32 v7, v7, v8
	s_cbranch_scc0 .LBB57_20
	s_branch .LBB57_26
.LBB57_21:
                                        ; implicit-def: $vgpr7_vgpr8
.LBB57_22:
	s_andn2_b32 vcc_lo, exec_lo, s14
	s_cbranch_vccnz .LBB57_24
; %bb.23:
	v_mul_lo_u32 v7, v6, s0
	v_mul_lo_u32 v8, v5, s1
	v_mad_u64_u32 v[5:6], null, v5, s0, 0
	v_add3_u32 v6, v6, v8, v7
.LBB57_24:
	v_mov_b32_e32 v8, v6
	v_mov_b32_e32 v7, v5
	s_load_dwordx2 s[10:11], s[4:5], 0x60
	v_cmp_lt_i64_e64 s13, s[8:9], 1
	s_and_b32 vcc_lo, exec_lo, s13
	s_cbranch_vccz .LBB57_19
.LBB57_25:
	v_mov_b32_e32 v7, 0
.LBB57_26:
	v_lshlrev_b64 v[1:2], 2, v[1:2]
	v_lshlrev_b32_e32 v3, 2, v0
	ds_write_b32 v3, v7
	s_waitcnt lgkmcnt(0)
	v_add_co_u32 v0, vcc_lo, s10, v1
	v_add_co_ci_u32_e64 v1, null, s11, v2, vcc_lo
	s_barrier
	buffer_gl0_inv
	global_load_dword v2, v[0:1], off
	ds_read_b32 v3, v3
	s_waitcnt lgkmcnt(0)
	v_mul_f32_e32 v3, s16, v3
	s_waitcnt vmcnt(0)
	v_fmac_f32_e32 v3, s2, v2
	global_store_dword v[0:1], v3, off
.LBB57_27:
	s_endpgm
	.section	.rodata,"a",@progbits
	.p2align	6, 0x0
	.amdhsa_kernel _ZN9rocsparseL17sddmm_coox_kernelILi512ELi1ELb0EfllDF16_DF16_fEEv20rocsparse_operation_S1_16rocsparse_order_S2_T4_S3_S3_T3_NS_24const_host_device_scalarIT2_EEPKT5_lPKT6_lS7_PT7_PKS4_SH_21rocsparse_index_base_b
		.amdhsa_group_segment_fixed_size 2048
		.amdhsa_private_segment_fixed_size 0
		.amdhsa_kernarg_size 128
		.amdhsa_user_sgpr_count 6
		.amdhsa_user_sgpr_private_segment_buffer 1
		.amdhsa_user_sgpr_dispatch_ptr 0
		.amdhsa_user_sgpr_queue_ptr 0
		.amdhsa_user_sgpr_kernarg_segment_ptr 1
		.amdhsa_user_sgpr_dispatch_id 0
		.amdhsa_user_sgpr_flat_scratch_init 0
		.amdhsa_user_sgpr_private_segment_size 0
		.amdhsa_wavefront_size32 1
		.amdhsa_uses_dynamic_stack 0
		.amdhsa_system_sgpr_private_segment_wavefront_offset 0
		.amdhsa_system_sgpr_workgroup_id_x 1
		.amdhsa_system_sgpr_workgroup_id_y 0
		.amdhsa_system_sgpr_workgroup_id_z 0
		.amdhsa_system_sgpr_workgroup_info 0
		.amdhsa_system_vgpr_workitem_id 0
		.amdhsa_next_free_vgpr 11
		.amdhsa_next_free_sgpr 20
		.amdhsa_reserve_vcc 1
		.amdhsa_reserve_flat_scratch 0
		.amdhsa_float_round_mode_32 0
		.amdhsa_float_round_mode_16_64 0
		.amdhsa_float_denorm_mode_32 3
		.amdhsa_float_denorm_mode_16_64 3
		.amdhsa_dx10_clamp 1
		.amdhsa_ieee_mode 1
		.amdhsa_fp16_overflow 0
		.amdhsa_workgroup_processor_mode 1
		.amdhsa_memory_ordered 1
		.amdhsa_forward_progress 1
		.amdhsa_shared_vgpr_count 0
		.amdhsa_exception_fp_ieee_invalid_op 0
		.amdhsa_exception_fp_denorm_src 0
		.amdhsa_exception_fp_ieee_div_zero 0
		.amdhsa_exception_fp_ieee_overflow 0
		.amdhsa_exception_fp_ieee_underflow 0
		.amdhsa_exception_fp_ieee_inexact 0
		.amdhsa_exception_int_div_zero 0
	.end_amdhsa_kernel
	.section	.text._ZN9rocsparseL17sddmm_coox_kernelILi512ELi1ELb0EfllDF16_DF16_fEEv20rocsparse_operation_S1_16rocsparse_order_S2_T4_S3_S3_T3_NS_24const_host_device_scalarIT2_EEPKT5_lPKT6_lS7_PT7_PKS4_SH_21rocsparse_index_base_b,"axG",@progbits,_ZN9rocsparseL17sddmm_coox_kernelILi512ELi1ELb0EfllDF16_DF16_fEEv20rocsparse_operation_S1_16rocsparse_order_S2_T4_S3_S3_T3_NS_24const_host_device_scalarIT2_EEPKT5_lPKT6_lS7_PT7_PKS4_SH_21rocsparse_index_base_b,comdat
.Lfunc_end57:
	.size	_ZN9rocsparseL17sddmm_coox_kernelILi512ELi1ELb0EfllDF16_DF16_fEEv20rocsparse_operation_S1_16rocsparse_order_S2_T4_S3_S3_T3_NS_24const_host_device_scalarIT2_EEPKT5_lPKT6_lS7_PT7_PKS4_SH_21rocsparse_index_base_b, .Lfunc_end57-_ZN9rocsparseL17sddmm_coox_kernelILi512ELi1ELb0EfllDF16_DF16_fEEv20rocsparse_operation_S1_16rocsparse_order_S2_T4_S3_S3_T3_NS_24const_host_device_scalarIT2_EEPKT5_lPKT6_lS7_PT7_PKS4_SH_21rocsparse_index_base_b
                                        ; -- End function
	.set _ZN9rocsparseL17sddmm_coox_kernelILi512ELi1ELb0EfllDF16_DF16_fEEv20rocsparse_operation_S1_16rocsparse_order_S2_T4_S3_S3_T3_NS_24const_host_device_scalarIT2_EEPKT5_lPKT6_lS7_PT7_PKS4_SH_21rocsparse_index_base_b.num_vgpr, 11
	.set _ZN9rocsparseL17sddmm_coox_kernelILi512ELi1ELb0EfllDF16_DF16_fEEv20rocsparse_operation_S1_16rocsparse_order_S2_T4_S3_S3_T3_NS_24const_host_device_scalarIT2_EEPKT5_lPKT6_lS7_PT7_PKS4_SH_21rocsparse_index_base_b.num_agpr, 0
	.set _ZN9rocsparseL17sddmm_coox_kernelILi512ELi1ELb0EfllDF16_DF16_fEEv20rocsparse_operation_S1_16rocsparse_order_S2_T4_S3_S3_T3_NS_24const_host_device_scalarIT2_EEPKT5_lPKT6_lS7_PT7_PKS4_SH_21rocsparse_index_base_b.numbered_sgpr, 20
	.set _ZN9rocsparseL17sddmm_coox_kernelILi512ELi1ELb0EfllDF16_DF16_fEEv20rocsparse_operation_S1_16rocsparse_order_S2_T4_S3_S3_T3_NS_24const_host_device_scalarIT2_EEPKT5_lPKT6_lS7_PT7_PKS4_SH_21rocsparse_index_base_b.num_named_barrier, 0
	.set _ZN9rocsparseL17sddmm_coox_kernelILi512ELi1ELb0EfllDF16_DF16_fEEv20rocsparse_operation_S1_16rocsparse_order_S2_T4_S3_S3_T3_NS_24const_host_device_scalarIT2_EEPKT5_lPKT6_lS7_PT7_PKS4_SH_21rocsparse_index_base_b.private_seg_size, 0
	.set _ZN9rocsparseL17sddmm_coox_kernelILi512ELi1ELb0EfllDF16_DF16_fEEv20rocsparse_operation_S1_16rocsparse_order_S2_T4_S3_S3_T3_NS_24const_host_device_scalarIT2_EEPKT5_lPKT6_lS7_PT7_PKS4_SH_21rocsparse_index_base_b.uses_vcc, 1
	.set _ZN9rocsparseL17sddmm_coox_kernelILi512ELi1ELb0EfllDF16_DF16_fEEv20rocsparse_operation_S1_16rocsparse_order_S2_T4_S3_S3_T3_NS_24const_host_device_scalarIT2_EEPKT5_lPKT6_lS7_PT7_PKS4_SH_21rocsparse_index_base_b.uses_flat_scratch, 0
	.set _ZN9rocsparseL17sddmm_coox_kernelILi512ELi1ELb0EfllDF16_DF16_fEEv20rocsparse_operation_S1_16rocsparse_order_S2_T4_S3_S3_T3_NS_24const_host_device_scalarIT2_EEPKT5_lPKT6_lS7_PT7_PKS4_SH_21rocsparse_index_base_b.has_dyn_sized_stack, 0
	.set _ZN9rocsparseL17sddmm_coox_kernelILi512ELi1ELb0EfllDF16_DF16_fEEv20rocsparse_operation_S1_16rocsparse_order_S2_T4_S3_S3_T3_NS_24const_host_device_scalarIT2_EEPKT5_lPKT6_lS7_PT7_PKS4_SH_21rocsparse_index_base_b.has_recursion, 0
	.set _ZN9rocsparseL17sddmm_coox_kernelILi512ELi1ELb0EfllDF16_DF16_fEEv20rocsparse_operation_S1_16rocsparse_order_S2_T4_S3_S3_T3_NS_24const_host_device_scalarIT2_EEPKT5_lPKT6_lS7_PT7_PKS4_SH_21rocsparse_index_base_b.has_indirect_call, 0
	.section	.AMDGPU.csdata,"",@progbits
; Kernel info:
; codeLenInByte = 896
; TotalNumSgprs: 22
; NumVgprs: 11
; ScratchSize: 0
; MemoryBound: 0
; FloatMode: 240
; IeeeMode: 1
; LDSByteSize: 2048 bytes/workgroup (compile time only)
; SGPRBlocks: 0
; VGPRBlocks: 1
; NumSGPRsForWavesPerEU: 22
; NumVGPRsForWavesPerEU: 11
; Occupancy: 16
; WaveLimiterHint : 0
; COMPUTE_PGM_RSRC2:SCRATCH_EN: 0
; COMPUTE_PGM_RSRC2:USER_SGPR: 6
; COMPUTE_PGM_RSRC2:TRAP_HANDLER: 0
; COMPUTE_PGM_RSRC2:TGID_X_EN: 1
; COMPUTE_PGM_RSRC2:TGID_Y_EN: 0
; COMPUTE_PGM_RSRC2:TGID_Z_EN: 0
; COMPUTE_PGM_RSRC2:TIDIG_COMP_CNT: 0
	.section	.AMDGPU.gpr_maximums,"",@progbits
	.set amdgpu.max_num_vgpr, 0
	.set amdgpu.max_num_agpr, 0
	.set amdgpu.max_num_sgpr, 0
	.section	.AMDGPU.csdata,"",@progbits
	.type	__hip_cuid_fc27e8981a8e7e1f,@object ; @__hip_cuid_fc27e8981a8e7e1f
	.section	.bss,"aw",@nobits
	.globl	__hip_cuid_fc27e8981a8e7e1f
__hip_cuid_fc27e8981a8e7e1f:
	.byte	0                               ; 0x0
	.size	__hip_cuid_fc27e8981a8e7e1f, 1

	.ident	"AMD clang version 22.0.0git (https://github.com/RadeonOpenCompute/llvm-project roc-7.2.4 26084 f58b06dce1f9c15707c5f808fd002e18c2accf7e)"
	.section	".note.GNU-stack","",@progbits
	.addrsig
	.addrsig_sym __hip_cuid_fc27e8981a8e7e1f
	.amdgpu_metadata
---
amdhsa.kernels:
  - .args:
      - .offset:         0
        .size:           4
        .value_kind:     by_value
      - .offset:         4
        .size:           4
        .value_kind:     by_value
      - .offset:         8
        .size:           4
        .value_kind:     by_value
      - .actual_access:  read_only
        .address_space:  global
        .offset:         16
        .size:           8
        .value_kind:     global_buffer
      - .offset:         24
        .size:           4
        .value_kind:     by_value
      - .actual_access:  write_only
        .address_space:  global
        .offset:         32
        .size:           8
        .value_kind:     global_buffer
      - .actual_access:  read_only
        .address_space:  global
        .offset:         40
        .size:           8
        .value_kind:     global_buffer
      - .actual_access:  read_only
        .address_space:  global
        .offset:         48
        .size:           8
        .value_kind:     global_buffer
      - .offset:         56
        .size:           4
        .value_kind:     by_value
      - .offset:         64
        .size:           4
        .value_kind:     hidden_block_count_x
      - .offset:         68
        .size:           4
        .value_kind:     hidden_block_count_y
      - .offset:         72
        .size:           4
        .value_kind:     hidden_block_count_z
      - .offset:         76
        .size:           2
        .value_kind:     hidden_group_size_x
      - .offset:         78
        .size:           2
        .value_kind:     hidden_group_size_y
      - .offset:         80
        .size:           2
        .value_kind:     hidden_group_size_z
      - .offset:         82
        .size:           2
        .value_kind:     hidden_remainder_x
      - .offset:         84
        .size:           2
        .value_kind:     hidden_remainder_y
      - .offset:         86
        .size:           2
        .value_kind:     hidden_remainder_z
      - .offset:         104
        .size:           8
        .value_kind:     hidden_global_offset_x
      - .offset:         112
        .size:           8
        .value_kind:     hidden_global_offset_y
      - .offset:         120
        .size:           8
        .value_kind:     hidden_global_offset_z
      - .offset:         128
        .size:           2
        .value_kind:     hidden_grid_dims
    .group_segment_fixed_size: 0
    .kernarg_segment_align: 8
    .kernarg_segment_size: 320
    .language:       OpenCL C
    .language_version:
      - 2
      - 0
    .max_flat_workgroup_size: 512
    .name:           _ZN9rocsparseL24sddmm_coox_sample_kernelILi512ELb0EDF16_iiDF16_EEvT3_S1_T2_PKT4_S1_PS3_PKS2_S8_21rocsparse_index_base_
    .private_segment_fixed_size: 0
    .sgpr_count:     16
    .sgpr_spill_count: 0
    .symbol:         _ZN9rocsparseL24sddmm_coox_sample_kernelILi512ELb0EDF16_iiDF16_EEvT3_S1_T2_PKT4_S1_PS3_PKS2_S8_21rocsparse_index_base_.kd
    .uniform_work_group_size: 1
    .uses_dynamic_stack: false
    .vgpr_count:     6
    .vgpr_spill_count: 0
    .wavefront_size: 32
    .workgroup_processor_mode: 1
  - .args:
      - .offset:         0
        .size:           4
        .value_kind:     by_value
      - .offset:         4
        .size:           4
        .value_kind:     by_value
      - .offset:         8
        .size:           4
        .value_kind:     by_value
      - .offset:         12
        .size:           4
        .value_kind:     by_value
      - .offset:         16
        .size:           4
        .value_kind:     by_value
      - .offset:         20
        .size:           4
        .value_kind:     by_value
      - .offset:         24
        .size:           4
        .value_kind:     by_value
      - .offset:         28
        .size:           4
        .value_kind:     by_value
      - .offset:         32
        .size:           8
        .value_kind:     by_value
      - .actual_access:  read_only
        .address_space:  global
        .offset:         40
        .size:           8
        .value_kind:     global_buffer
      - .offset:         48
        .size:           8
        .value_kind:     by_value
      - .actual_access:  read_only
        .address_space:  global
        .offset:         56
        .size:           8
        .value_kind:     global_buffer
      - .offset:         64
        .size:           8
        .value_kind:     by_value
      - .offset:         72
        .size:           8
        .value_kind:     by_value
      - .address_space:  global
        .offset:         80
        .size:           8
        .value_kind:     global_buffer
      - .actual_access:  read_only
        .address_space:  global
        .offset:         88
        .size:           8
        .value_kind:     global_buffer
      - .actual_access:  read_only
        .address_space:  global
        .offset:         96
        .size:           8
        .value_kind:     global_buffer
      - .offset:         104
        .size:           4
        .value_kind:     by_value
      - .offset:         108
        .size:           1
        .value_kind:     by_value
    .group_segment_fixed_size: 1024
    .kernarg_segment_align: 8
    .kernarg_segment_size: 112
    .language:       OpenCL C
    .language_version:
      - 2
      - 0
    .max_flat_workgroup_size: 512
    .name:           _ZN9rocsparseL17sddmm_coox_kernelILi512ELi8ELb0EDF16_iiDF16_DF16_DF16_EEv20rocsparse_operation_S1_16rocsparse_order_S2_T4_S3_S3_T3_NS_24const_host_device_scalarIT2_EEPKT5_lPKT6_lS7_PT7_PKS4_SH_21rocsparse_index_base_b
    .private_segment_fixed_size: 0
    .sgpr_count:     18
    .sgpr_spill_count: 0
    .symbol:         _ZN9rocsparseL17sddmm_coox_kernelILi512ELi8ELb0EDF16_iiDF16_DF16_DF16_EEv20rocsparse_operation_S1_16rocsparse_order_S2_T4_S3_S3_T3_NS_24const_host_device_scalarIT2_EEPKT5_lPKT6_lS7_PT7_PKS4_SH_21rocsparse_index_base_b.kd
    .uniform_work_group_size: 1
    .uses_dynamic_stack: false
    .vgpr_count:     20
    .vgpr_spill_count: 0
    .wavefront_size: 32
    .workgroup_processor_mode: 1
  - .args:
      - .offset:         0
        .size:           4
        .value_kind:     by_value
      - .offset:         4
        .size:           4
        .value_kind:     by_value
      - .offset:         8
        .size:           4
        .value_kind:     by_value
      - .offset:         12
        .size:           4
        .value_kind:     by_value
      - .offset:         16
        .size:           4
        .value_kind:     by_value
      - .offset:         20
        .size:           4
        .value_kind:     by_value
      - .offset:         24
        .size:           4
        .value_kind:     by_value
      - .offset:         28
        .size:           4
        .value_kind:     by_value
      - .offset:         32
        .size:           8
        .value_kind:     by_value
      - .actual_access:  read_only
        .address_space:  global
        .offset:         40
        .size:           8
        .value_kind:     global_buffer
      - .offset:         48
        .size:           8
        .value_kind:     by_value
      - .actual_access:  read_only
        .address_space:  global
        .offset:         56
        .size:           8
        .value_kind:     global_buffer
      - .offset:         64
        .size:           8
        .value_kind:     by_value
      - .offset:         72
        .size:           8
        .value_kind:     by_value
      - .address_space:  global
        .offset:         80
        .size:           8
        .value_kind:     global_buffer
      - .actual_access:  read_only
        .address_space:  global
        .offset:         88
        .size:           8
        .value_kind:     global_buffer
      - .actual_access:  read_only
        .address_space:  global
        .offset:         96
        .size:           8
        .value_kind:     global_buffer
      - .offset:         104
        .size:           4
        .value_kind:     by_value
      - .offset:         108
        .size:           1
        .value_kind:     by_value
    .group_segment_fixed_size: 1024
    .kernarg_segment_align: 8
    .kernarg_segment_size: 112
    .language:       OpenCL C
    .language_version:
      - 2
      - 0
    .max_flat_workgroup_size: 512
    .name:           _ZN9rocsparseL17sddmm_coox_kernelILi512ELi4ELb0EDF16_iiDF16_DF16_DF16_EEv20rocsparse_operation_S1_16rocsparse_order_S2_T4_S3_S3_T3_NS_24const_host_device_scalarIT2_EEPKT5_lPKT6_lS7_PT7_PKS4_SH_21rocsparse_index_base_b
    .private_segment_fixed_size: 0
    .sgpr_count:     18
    .sgpr_spill_count: 0
    .symbol:         _ZN9rocsparseL17sddmm_coox_kernelILi512ELi4ELb0EDF16_iiDF16_DF16_DF16_EEv20rocsparse_operation_S1_16rocsparse_order_S2_T4_S3_S3_T3_NS_24const_host_device_scalarIT2_EEPKT5_lPKT6_lS7_PT7_PKS4_SH_21rocsparse_index_base_b.kd
    .uniform_work_group_size: 1
    .uses_dynamic_stack: false
    .vgpr_count:     20
    .vgpr_spill_count: 0
    .wavefront_size: 32
    .workgroup_processor_mode: 1
  - .args:
      - .offset:         0
        .size:           4
        .value_kind:     by_value
      - .offset:         4
        .size:           4
        .value_kind:     by_value
      - .offset:         8
        .size:           4
        .value_kind:     by_value
      - .offset:         12
        .size:           4
        .value_kind:     by_value
      - .offset:         16
        .size:           4
        .value_kind:     by_value
      - .offset:         20
        .size:           4
        .value_kind:     by_value
      - .offset:         24
        .size:           4
        .value_kind:     by_value
      - .offset:         28
        .size:           4
        .value_kind:     by_value
      - .offset:         32
        .size:           8
        .value_kind:     by_value
      - .actual_access:  read_only
        .address_space:  global
        .offset:         40
        .size:           8
        .value_kind:     global_buffer
      - .offset:         48
        .size:           8
        .value_kind:     by_value
      - .actual_access:  read_only
        .address_space:  global
        .offset:         56
        .size:           8
        .value_kind:     global_buffer
      - .offset:         64
        .size:           8
        .value_kind:     by_value
      - .offset:         72
        .size:           8
        .value_kind:     by_value
      - .address_space:  global
        .offset:         80
        .size:           8
        .value_kind:     global_buffer
      - .actual_access:  read_only
        .address_space:  global
        .offset:         88
        .size:           8
        .value_kind:     global_buffer
      - .actual_access:  read_only
        .address_space:  global
        .offset:         96
        .size:           8
        .value_kind:     global_buffer
      - .offset:         104
        .size:           4
        .value_kind:     by_value
      - .offset:         108
        .size:           1
        .value_kind:     by_value
    .group_segment_fixed_size: 1024
    .kernarg_segment_align: 8
    .kernarg_segment_size: 112
    .language:       OpenCL C
    .language_version:
      - 2
      - 0
    .max_flat_workgroup_size: 512
    .name:           _ZN9rocsparseL17sddmm_coox_kernelILi512ELi2ELb0EDF16_iiDF16_DF16_DF16_EEv20rocsparse_operation_S1_16rocsparse_order_S2_T4_S3_S3_T3_NS_24const_host_device_scalarIT2_EEPKT5_lPKT6_lS7_PT7_PKS4_SH_21rocsparse_index_base_b
    .private_segment_fixed_size: 0
    .sgpr_count:     18
    .sgpr_spill_count: 0
    .symbol:         _ZN9rocsparseL17sddmm_coox_kernelILi512ELi2ELb0EDF16_iiDF16_DF16_DF16_EEv20rocsparse_operation_S1_16rocsparse_order_S2_T4_S3_S3_T3_NS_24const_host_device_scalarIT2_EEPKT5_lPKT6_lS7_PT7_PKS4_SH_21rocsparse_index_base_b.kd
    .uniform_work_group_size: 1
    .uses_dynamic_stack: false
    .vgpr_count:     20
    .vgpr_spill_count: 0
    .wavefront_size: 32
    .workgroup_processor_mode: 1
  - .args:
      - .offset:         0
        .size:           4
        .value_kind:     by_value
      - .offset:         4
        .size:           4
        .value_kind:     by_value
      - .offset:         8
        .size:           4
        .value_kind:     by_value
      - .offset:         12
        .size:           4
        .value_kind:     by_value
      - .offset:         16
        .size:           4
        .value_kind:     by_value
      - .offset:         20
        .size:           4
        .value_kind:     by_value
      - .offset:         24
        .size:           4
        .value_kind:     by_value
      - .offset:         28
        .size:           4
        .value_kind:     by_value
      - .offset:         32
        .size:           8
        .value_kind:     by_value
      - .actual_access:  read_only
        .address_space:  global
        .offset:         40
        .size:           8
        .value_kind:     global_buffer
      - .offset:         48
        .size:           8
        .value_kind:     by_value
      - .actual_access:  read_only
        .address_space:  global
        .offset:         56
        .size:           8
        .value_kind:     global_buffer
      - .offset:         64
        .size:           8
        .value_kind:     by_value
      - .offset:         72
        .size:           8
        .value_kind:     by_value
      - .address_space:  global
        .offset:         80
        .size:           8
        .value_kind:     global_buffer
      - .actual_access:  read_only
        .address_space:  global
        .offset:         88
        .size:           8
        .value_kind:     global_buffer
      - .actual_access:  read_only
        .address_space:  global
        .offset:         96
        .size:           8
        .value_kind:     global_buffer
      - .offset:         104
        .size:           4
        .value_kind:     by_value
      - .offset:         108
        .size:           1
        .value_kind:     by_value
    .group_segment_fixed_size: 1024
    .kernarg_segment_align: 8
    .kernarg_segment_size: 112
    .language:       OpenCL C
    .language_version:
      - 2
      - 0
    .max_flat_workgroup_size: 512
    .name:           _ZN9rocsparseL17sddmm_coox_kernelILi512ELi1ELb0EDF16_iiDF16_DF16_DF16_EEv20rocsparse_operation_S1_16rocsparse_order_S2_T4_S3_S3_T3_NS_24const_host_device_scalarIT2_EEPKT5_lPKT6_lS7_PT7_PKS4_SH_21rocsparse_index_base_b
    .private_segment_fixed_size: 0
    .sgpr_count:     18
    .sgpr_spill_count: 0
    .symbol:         _ZN9rocsparseL17sddmm_coox_kernelILi512ELi1ELb0EDF16_iiDF16_DF16_DF16_EEv20rocsparse_operation_S1_16rocsparse_order_S2_T4_S3_S3_T3_NS_24const_host_device_scalarIT2_EEPKT5_lPKT6_lS7_PT7_PKS4_SH_21rocsparse_index_base_b.kd
    .uniform_work_group_size: 1
    .uses_dynamic_stack: false
    .vgpr_count:     13
    .vgpr_spill_count: 0
    .wavefront_size: 32
    .workgroup_processor_mode: 1
  - .args:
      - .offset:         0
        .size:           4
        .value_kind:     by_value
      - .offset:         4
        .size:           4
        .value_kind:     by_value
      - .offset:         8
        .size:           4
        .value_kind:     by_value
      - .actual_access:  read_only
        .address_space:  global
        .offset:         16
        .size:           8
        .value_kind:     global_buffer
      - .offset:         24
        .size:           4
        .value_kind:     by_value
      - .actual_access:  write_only
        .address_space:  global
        .offset:         32
        .size:           8
        .value_kind:     global_buffer
      - .actual_access:  read_only
        .address_space:  global
        .offset:         40
        .size:           8
        .value_kind:     global_buffer
      - .actual_access:  read_only
        .address_space:  global
        .offset:         48
        .size:           8
        .value_kind:     global_buffer
      - .offset:         56
        .size:           4
        .value_kind:     by_value
      - .offset:         64
        .size:           4
        .value_kind:     hidden_block_count_x
      - .offset:         68
        .size:           4
        .value_kind:     hidden_block_count_y
      - .offset:         72
        .size:           4
        .value_kind:     hidden_block_count_z
      - .offset:         76
        .size:           2
        .value_kind:     hidden_group_size_x
      - .offset:         78
        .size:           2
        .value_kind:     hidden_group_size_y
      - .offset:         80
        .size:           2
        .value_kind:     hidden_group_size_z
      - .offset:         82
        .size:           2
        .value_kind:     hidden_remainder_x
      - .offset:         84
        .size:           2
        .value_kind:     hidden_remainder_y
      - .offset:         86
        .size:           2
        .value_kind:     hidden_remainder_z
      - .offset:         104
        .size:           8
        .value_kind:     hidden_global_offset_x
      - .offset:         112
        .size:           8
        .value_kind:     hidden_global_offset_y
      - .offset:         120
        .size:           8
        .value_kind:     hidden_global_offset_z
      - .offset:         128
        .size:           2
        .value_kind:     hidden_grid_dims
    .group_segment_fixed_size: 0
    .kernarg_segment_align: 8
    .kernarg_segment_size: 320
    .language:       OpenCL C
    .language_version:
      - 2
      - 0
    .max_flat_workgroup_size: 512
    .name:           _ZN9rocsparseL24sddmm_coox_sample_kernelILi512ELb0EfiifEEvT3_S1_T2_PKT4_S1_PS3_PKS2_S8_21rocsparse_index_base_
    .private_segment_fixed_size: 0
    .sgpr_count:     16
    .sgpr_spill_count: 0
    .symbol:         _ZN9rocsparseL24sddmm_coox_sample_kernelILi512ELb0EfiifEEvT3_S1_T2_PKT4_S1_PS3_PKS2_S8_21rocsparse_index_base_.kd
    .uniform_work_group_size: 1
    .uses_dynamic_stack: false
    .vgpr_count:     8
    .vgpr_spill_count: 0
    .wavefront_size: 32
    .workgroup_processor_mode: 1
  - .args:
      - .offset:         0
        .size:           4
        .value_kind:     by_value
      - .offset:         4
        .size:           4
        .value_kind:     by_value
      - .offset:         8
        .size:           4
        .value_kind:     by_value
      - .offset:         12
        .size:           4
        .value_kind:     by_value
      - .offset:         16
        .size:           4
        .value_kind:     by_value
      - .offset:         20
        .size:           4
        .value_kind:     by_value
      - .offset:         24
        .size:           4
        .value_kind:     by_value
      - .offset:         28
        .size:           4
        .value_kind:     by_value
      - .offset:         32
        .size:           8
        .value_kind:     by_value
      - .actual_access:  read_only
        .address_space:  global
        .offset:         40
        .size:           8
        .value_kind:     global_buffer
      - .offset:         48
        .size:           8
        .value_kind:     by_value
      - .actual_access:  read_only
        .address_space:  global
        .offset:         56
        .size:           8
        .value_kind:     global_buffer
      - .offset:         64
        .size:           8
        .value_kind:     by_value
      - .offset:         72
        .size:           8
        .value_kind:     by_value
      - .address_space:  global
        .offset:         80
        .size:           8
        .value_kind:     global_buffer
      - .actual_access:  read_only
        .address_space:  global
        .offset:         88
        .size:           8
        .value_kind:     global_buffer
      - .actual_access:  read_only
        .address_space:  global
        .offset:         96
        .size:           8
        .value_kind:     global_buffer
      - .offset:         104
        .size:           4
        .value_kind:     by_value
      - .offset:         108
        .size:           1
        .value_kind:     by_value
    .group_segment_fixed_size: 2048
    .kernarg_segment_align: 8
    .kernarg_segment_size: 112
    .language:       OpenCL C
    .language_version:
      - 2
      - 0
    .max_flat_workgroup_size: 512
    .name:           _ZN9rocsparseL17sddmm_coox_kernelILi512ELi8ELb0EfiifffEEv20rocsparse_operation_S1_16rocsparse_order_S2_T4_S3_S3_T3_NS_24const_host_device_scalarIT2_EEPKT5_lPKT6_lS7_PT7_PKS4_SH_21rocsparse_index_base_b
    .private_segment_fixed_size: 0
    .sgpr_count:     22
    .sgpr_spill_count: 0
    .symbol:         _ZN9rocsparseL17sddmm_coox_kernelILi512ELi8ELb0EfiifffEEv20rocsparse_operation_S1_16rocsparse_order_S2_T4_S3_S3_T3_NS_24const_host_device_scalarIT2_EEPKT5_lPKT6_lS7_PT7_PKS4_SH_21rocsparse_index_base_b.kd
    .uniform_work_group_size: 1
    .uses_dynamic_stack: false
    .vgpr_count:     18
    .vgpr_spill_count: 0
    .wavefront_size: 32
    .workgroup_processor_mode: 1
  - .args:
      - .offset:         0
        .size:           4
        .value_kind:     by_value
      - .offset:         4
        .size:           4
        .value_kind:     by_value
      - .offset:         8
        .size:           4
        .value_kind:     by_value
      - .offset:         12
        .size:           4
        .value_kind:     by_value
      - .offset:         16
        .size:           4
        .value_kind:     by_value
      - .offset:         20
        .size:           4
        .value_kind:     by_value
      - .offset:         24
        .size:           4
        .value_kind:     by_value
      - .offset:         28
        .size:           4
        .value_kind:     by_value
      - .offset:         32
        .size:           8
        .value_kind:     by_value
      - .actual_access:  read_only
        .address_space:  global
        .offset:         40
        .size:           8
        .value_kind:     global_buffer
      - .offset:         48
        .size:           8
        .value_kind:     by_value
      - .actual_access:  read_only
        .address_space:  global
        .offset:         56
        .size:           8
        .value_kind:     global_buffer
      - .offset:         64
        .size:           8
        .value_kind:     by_value
      - .offset:         72
        .size:           8
        .value_kind:     by_value
      - .address_space:  global
        .offset:         80
        .size:           8
        .value_kind:     global_buffer
      - .actual_access:  read_only
        .address_space:  global
        .offset:         88
        .size:           8
        .value_kind:     global_buffer
      - .actual_access:  read_only
        .address_space:  global
        .offset:         96
        .size:           8
        .value_kind:     global_buffer
      - .offset:         104
        .size:           4
        .value_kind:     by_value
      - .offset:         108
        .size:           1
        .value_kind:     by_value
    .group_segment_fixed_size: 2048
    .kernarg_segment_align: 8
    .kernarg_segment_size: 112
    .language:       OpenCL C
    .language_version:
      - 2
      - 0
    .max_flat_workgroup_size: 512
    .name:           _ZN9rocsparseL17sddmm_coox_kernelILi512ELi4ELb0EfiifffEEv20rocsparse_operation_S1_16rocsparse_order_S2_T4_S3_S3_T3_NS_24const_host_device_scalarIT2_EEPKT5_lPKT6_lS7_PT7_PKS4_SH_21rocsparse_index_base_b
    .private_segment_fixed_size: 0
    .sgpr_count:     20
    .sgpr_spill_count: 0
    .symbol:         _ZN9rocsparseL17sddmm_coox_kernelILi512ELi4ELb0EfiifffEEv20rocsparse_operation_S1_16rocsparse_order_S2_T4_S3_S3_T3_NS_24const_host_device_scalarIT2_EEPKT5_lPKT6_lS7_PT7_PKS4_SH_21rocsparse_index_base_b.kd
    .uniform_work_group_size: 1
    .uses_dynamic_stack: false
    .vgpr_count:     18
    .vgpr_spill_count: 0
    .wavefront_size: 32
    .workgroup_processor_mode: 1
  - .args:
      - .offset:         0
        .size:           4
        .value_kind:     by_value
      - .offset:         4
        .size:           4
        .value_kind:     by_value
      - .offset:         8
        .size:           4
        .value_kind:     by_value
      - .offset:         12
        .size:           4
        .value_kind:     by_value
      - .offset:         16
        .size:           4
        .value_kind:     by_value
      - .offset:         20
        .size:           4
        .value_kind:     by_value
      - .offset:         24
        .size:           4
        .value_kind:     by_value
      - .offset:         28
        .size:           4
        .value_kind:     by_value
      - .offset:         32
        .size:           8
        .value_kind:     by_value
      - .actual_access:  read_only
        .address_space:  global
        .offset:         40
        .size:           8
        .value_kind:     global_buffer
      - .offset:         48
        .size:           8
        .value_kind:     by_value
      - .actual_access:  read_only
        .address_space:  global
        .offset:         56
        .size:           8
        .value_kind:     global_buffer
      - .offset:         64
        .size:           8
        .value_kind:     by_value
      - .offset:         72
        .size:           8
        .value_kind:     by_value
      - .address_space:  global
        .offset:         80
        .size:           8
        .value_kind:     global_buffer
      - .actual_access:  read_only
        .address_space:  global
        .offset:         88
        .size:           8
        .value_kind:     global_buffer
      - .actual_access:  read_only
        .address_space:  global
        .offset:         96
        .size:           8
        .value_kind:     global_buffer
      - .offset:         104
        .size:           4
        .value_kind:     by_value
      - .offset:         108
        .size:           1
        .value_kind:     by_value
    .group_segment_fixed_size: 2048
    .kernarg_segment_align: 8
    .kernarg_segment_size: 112
    .language:       OpenCL C
    .language_version:
      - 2
      - 0
    .max_flat_workgroup_size: 512
    .name:           _ZN9rocsparseL17sddmm_coox_kernelILi512ELi2ELb0EfiifffEEv20rocsparse_operation_S1_16rocsparse_order_S2_T4_S3_S3_T3_NS_24const_host_device_scalarIT2_EEPKT5_lPKT6_lS7_PT7_PKS4_SH_21rocsparse_index_base_b
    .private_segment_fixed_size: 0
    .sgpr_count:     20
    .sgpr_spill_count: 0
    .symbol:         _ZN9rocsparseL17sddmm_coox_kernelILi512ELi2ELb0EfiifffEEv20rocsparse_operation_S1_16rocsparse_order_S2_T4_S3_S3_T3_NS_24const_host_device_scalarIT2_EEPKT5_lPKT6_lS7_PT7_PKS4_SH_21rocsparse_index_base_b.kd
    .uniform_work_group_size: 1
    .uses_dynamic_stack: false
    .vgpr_count:     18
    .vgpr_spill_count: 0
    .wavefront_size: 32
    .workgroup_processor_mode: 1
  - .args:
      - .offset:         0
        .size:           4
        .value_kind:     by_value
      - .offset:         4
        .size:           4
        .value_kind:     by_value
      - .offset:         8
        .size:           4
        .value_kind:     by_value
      - .offset:         12
        .size:           4
        .value_kind:     by_value
      - .offset:         16
        .size:           4
        .value_kind:     by_value
      - .offset:         20
        .size:           4
        .value_kind:     by_value
      - .offset:         24
        .size:           4
        .value_kind:     by_value
      - .offset:         28
        .size:           4
        .value_kind:     by_value
      - .offset:         32
        .size:           8
        .value_kind:     by_value
      - .actual_access:  read_only
        .address_space:  global
        .offset:         40
        .size:           8
        .value_kind:     global_buffer
      - .offset:         48
        .size:           8
        .value_kind:     by_value
      - .actual_access:  read_only
        .address_space:  global
        .offset:         56
        .size:           8
        .value_kind:     global_buffer
      - .offset:         64
        .size:           8
        .value_kind:     by_value
      - .offset:         72
        .size:           8
        .value_kind:     by_value
      - .address_space:  global
        .offset:         80
        .size:           8
        .value_kind:     global_buffer
      - .actual_access:  read_only
        .address_space:  global
        .offset:         88
        .size:           8
        .value_kind:     global_buffer
      - .actual_access:  read_only
        .address_space:  global
        .offset:         96
        .size:           8
        .value_kind:     global_buffer
      - .offset:         104
        .size:           4
        .value_kind:     by_value
      - .offset:         108
        .size:           1
        .value_kind:     by_value
    .group_segment_fixed_size: 2048
    .kernarg_segment_align: 8
    .kernarg_segment_size: 112
    .language:       OpenCL C
    .language_version:
      - 2
      - 0
    .max_flat_workgroup_size: 512
    .name:           _ZN9rocsparseL17sddmm_coox_kernelILi512ELi1ELb0EfiifffEEv20rocsparse_operation_S1_16rocsparse_order_S2_T4_S3_S3_T3_NS_24const_host_device_scalarIT2_EEPKT5_lPKT6_lS7_PT7_PKS4_SH_21rocsparse_index_base_b
    .private_segment_fixed_size: 0
    .sgpr_count:     20
    .sgpr_spill_count: 0
    .symbol:         _ZN9rocsparseL17sddmm_coox_kernelILi512ELi1ELb0EfiifffEEv20rocsparse_operation_S1_16rocsparse_order_S2_T4_S3_S3_T3_NS_24const_host_device_scalarIT2_EEPKT5_lPKT6_lS7_PT7_PKS4_SH_21rocsparse_index_base_b.kd
    .uniform_work_group_size: 1
    .uses_dynamic_stack: false
    .vgpr_count:     11
    .vgpr_spill_count: 0
    .wavefront_size: 32
    .workgroup_processor_mode: 1
  - .args:
      - .offset:         0
        .size:           4
        .value_kind:     by_value
      - .offset:         4
        .size:           4
        .value_kind:     by_value
      - .offset:         8
        .size:           4
        .value_kind:     by_value
      - .actual_access:  read_only
        .address_space:  global
        .offset:         16
        .size:           8
        .value_kind:     global_buffer
      - .offset:         24
        .size:           4
        .value_kind:     by_value
      - .actual_access:  write_only
        .address_space:  global
        .offset:         32
        .size:           8
        .value_kind:     global_buffer
      - .actual_access:  read_only
        .address_space:  global
        .offset:         40
        .size:           8
        .value_kind:     global_buffer
      - .actual_access:  read_only
        .address_space:  global
        .offset:         48
        .size:           8
        .value_kind:     global_buffer
      - .offset:         56
        .size:           4
        .value_kind:     by_value
      - .offset:         64
        .size:           4
        .value_kind:     hidden_block_count_x
      - .offset:         68
        .size:           4
        .value_kind:     hidden_block_count_y
      - .offset:         72
        .size:           4
        .value_kind:     hidden_block_count_z
      - .offset:         76
        .size:           2
        .value_kind:     hidden_group_size_x
      - .offset:         78
        .size:           2
        .value_kind:     hidden_group_size_y
      - .offset:         80
        .size:           2
        .value_kind:     hidden_group_size_z
      - .offset:         82
        .size:           2
        .value_kind:     hidden_remainder_x
      - .offset:         84
        .size:           2
        .value_kind:     hidden_remainder_y
      - .offset:         86
        .size:           2
        .value_kind:     hidden_remainder_z
      - .offset:         104
        .size:           8
        .value_kind:     hidden_global_offset_x
      - .offset:         112
        .size:           8
        .value_kind:     hidden_global_offset_y
      - .offset:         120
        .size:           8
        .value_kind:     hidden_global_offset_z
      - .offset:         128
        .size:           2
        .value_kind:     hidden_grid_dims
    .group_segment_fixed_size: 0
    .kernarg_segment_align: 8
    .kernarg_segment_size: 320
    .language:       OpenCL C
    .language_version:
      - 2
      - 0
    .max_flat_workgroup_size: 512
    .name:           _ZN9rocsparseL24sddmm_coox_sample_kernelILi512ELb0EdiidEEvT3_S1_T2_PKT4_S1_PS3_PKS2_S8_21rocsparse_index_base_
    .private_segment_fixed_size: 0
    .sgpr_count:     16
    .sgpr_spill_count: 0
    .symbol:         _ZN9rocsparseL24sddmm_coox_sample_kernelILi512ELb0EdiidEEvT3_S1_T2_PKT4_S1_PS3_PKS2_S8_21rocsparse_index_base_.kd
    .uniform_work_group_size: 1
    .uses_dynamic_stack: false
    .vgpr_count:     6
    .vgpr_spill_count: 0
    .wavefront_size: 32
    .workgroup_processor_mode: 1
  - .args:
      - .offset:         0
        .size:           4
        .value_kind:     by_value
      - .offset:         4
        .size:           4
        .value_kind:     by_value
      - .offset:         8
        .size:           4
        .value_kind:     by_value
      - .offset:         12
        .size:           4
        .value_kind:     by_value
      - .offset:         16
        .size:           4
        .value_kind:     by_value
      - .offset:         20
        .size:           4
        .value_kind:     by_value
      - .offset:         24
        .size:           4
        .value_kind:     by_value
      - .offset:         28
        .size:           4
        .value_kind:     by_value
      - .offset:         32
        .size:           8
        .value_kind:     by_value
      - .actual_access:  read_only
        .address_space:  global
        .offset:         40
        .size:           8
        .value_kind:     global_buffer
      - .offset:         48
        .size:           8
        .value_kind:     by_value
      - .actual_access:  read_only
        .address_space:  global
        .offset:         56
        .size:           8
        .value_kind:     global_buffer
      - .offset:         64
        .size:           8
        .value_kind:     by_value
      - .offset:         72
        .size:           8
        .value_kind:     by_value
      - .address_space:  global
        .offset:         80
        .size:           8
        .value_kind:     global_buffer
      - .actual_access:  read_only
        .address_space:  global
        .offset:         88
        .size:           8
        .value_kind:     global_buffer
      - .actual_access:  read_only
        .address_space:  global
        .offset:         96
        .size:           8
        .value_kind:     global_buffer
      - .offset:         104
        .size:           4
        .value_kind:     by_value
      - .offset:         108
        .size:           1
        .value_kind:     by_value
    .group_segment_fixed_size: 4096
    .kernarg_segment_align: 8
    .kernarg_segment_size: 112
    .language:       OpenCL C
    .language_version:
      - 2
      - 0
    .max_flat_workgroup_size: 512
    .name:           _ZN9rocsparseL17sddmm_coox_kernelILi512ELi8ELb0EdiidddEEv20rocsparse_operation_S1_16rocsparse_order_S2_T4_S3_S3_T3_NS_24const_host_device_scalarIT2_EEPKT5_lPKT6_lS7_PT7_PKS4_SH_21rocsparse_index_base_b
    .private_segment_fixed_size: 0
    .sgpr_count:     18
    .sgpr_spill_count: 0
    .symbol:         _ZN9rocsparseL17sddmm_coox_kernelILi512ELi8ELb0EdiidddEEv20rocsparse_operation_S1_16rocsparse_order_S2_T4_S3_S3_T3_NS_24const_host_device_scalarIT2_EEPKT5_lPKT6_lS7_PT7_PKS4_SH_21rocsparse_index_base_b.kd
    .uniform_work_group_size: 1
    .uses_dynamic_stack: false
    .vgpr_count:     23
    .vgpr_spill_count: 0
    .wavefront_size: 32
    .workgroup_processor_mode: 1
  - .args:
      - .offset:         0
        .size:           4
        .value_kind:     by_value
      - .offset:         4
        .size:           4
        .value_kind:     by_value
      - .offset:         8
        .size:           4
        .value_kind:     by_value
      - .offset:         12
        .size:           4
        .value_kind:     by_value
      - .offset:         16
        .size:           4
        .value_kind:     by_value
      - .offset:         20
        .size:           4
        .value_kind:     by_value
      - .offset:         24
        .size:           4
        .value_kind:     by_value
      - .offset:         28
        .size:           4
        .value_kind:     by_value
      - .offset:         32
        .size:           8
        .value_kind:     by_value
      - .actual_access:  read_only
        .address_space:  global
        .offset:         40
        .size:           8
        .value_kind:     global_buffer
      - .offset:         48
        .size:           8
        .value_kind:     by_value
      - .actual_access:  read_only
        .address_space:  global
        .offset:         56
        .size:           8
        .value_kind:     global_buffer
      - .offset:         64
        .size:           8
        .value_kind:     by_value
      - .offset:         72
        .size:           8
        .value_kind:     by_value
      - .address_space:  global
        .offset:         80
        .size:           8
        .value_kind:     global_buffer
      - .actual_access:  read_only
        .address_space:  global
        .offset:         88
        .size:           8
        .value_kind:     global_buffer
      - .actual_access:  read_only
        .address_space:  global
        .offset:         96
        .size:           8
        .value_kind:     global_buffer
      - .offset:         104
        .size:           4
        .value_kind:     by_value
      - .offset:         108
        .size:           1
        .value_kind:     by_value
    .group_segment_fixed_size: 4096
    .kernarg_segment_align: 8
    .kernarg_segment_size: 112
    .language:       OpenCL C
    .language_version:
      - 2
      - 0
    .max_flat_workgroup_size: 512
    .name:           _ZN9rocsparseL17sddmm_coox_kernelILi512ELi4ELb0EdiidddEEv20rocsparse_operation_S1_16rocsparse_order_S2_T4_S3_S3_T3_NS_24const_host_device_scalarIT2_EEPKT5_lPKT6_lS7_PT7_PKS4_SH_21rocsparse_index_base_b
    .private_segment_fixed_size: 0
    .sgpr_count:     18
    .sgpr_spill_count: 0
    .symbol:         _ZN9rocsparseL17sddmm_coox_kernelILi512ELi4ELb0EdiidddEEv20rocsparse_operation_S1_16rocsparse_order_S2_T4_S3_S3_T3_NS_24const_host_device_scalarIT2_EEPKT5_lPKT6_lS7_PT7_PKS4_SH_21rocsparse_index_base_b.kd
    .uniform_work_group_size: 1
    .uses_dynamic_stack: false
    .vgpr_count:     23
    .vgpr_spill_count: 0
    .wavefront_size: 32
    .workgroup_processor_mode: 1
  - .args:
      - .offset:         0
        .size:           4
        .value_kind:     by_value
      - .offset:         4
        .size:           4
        .value_kind:     by_value
      - .offset:         8
        .size:           4
        .value_kind:     by_value
      - .offset:         12
        .size:           4
        .value_kind:     by_value
      - .offset:         16
        .size:           4
        .value_kind:     by_value
      - .offset:         20
        .size:           4
        .value_kind:     by_value
      - .offset:         24
        .size:           4
        .value_kind:     by_value
      - .offset:         28
        .size:           4
        .value_kind:     by_value
      - .offset:         32
        .size:           8
        .value_kind:     by_value
      - .actual_access:  read_only
        .address_space:  global
        .offset:         40
        .size:           8
        .value_kind:     global_buffer
      - .offset:         48
        .size:           8
        .value_kind:     by_value
      - .actual_access:  read_only
        .address_space:  global
        .offset:         56
        .size:           8
        .value_kind:     global_buffer
      - .offset:         64
        .size:           8
        .value_kind:     by_value
      - .offset:         72
        .size:           8
        .value_kind:     by_value
      - .address_space:  global
        .offset:         80
        .size:           8
        .value_kind:     global_buffer
      - .actual_access:  read_only
        .address_space:  global
        .offset:         88
        .size:           8
        .value_kind:     global_buffer
      - .actual_access:  read_only
        .address_space:  global
        .offset:         96
        .size:           8
        .value_kind:     global_buffer
      - .offset:         104
        .size:           4
        .value_kind:     by_value
      - .offset:         108
        .size:           1
        .value_kind:     by_value
    .group_segment_fixed_size: 4096
    .kernarg_segment_align: 8
    .kernarg_segment_size: 112
    .language:       OpenCL C
    .language_version:
      - 2
      - 0
    .max_flat_workgroup_size: 512
    .name:           _ZN9rocsparseL17sddmm_coox_kernelILi512ELi2ELb0EdiidddEEv20rocsparse_operation_S1_16rocsparse_order_S2_T4_S3_S3_T3_NS_24const_host_device_scalarIT2_EEPKT5_lPKT6_lS7_PT7_PKS4_SH_21rocsparse_index_base_b
    .private_segment_fixed_size: 0
    .sgpr_count:     18
    .sgpr_spill_count: 0
    .symbol:         _ZN9rocsparseL17sddmm_coox_kernelILi512ELi2ELb0EdiidddEEv20rocsparse_operation_S1_16rocsparse_order_S2_T4_S3_S3_T3_NS_24const_host_device_scalarIT2_EEPKT5_lPKT6_lS7_PT7_PKS4_SH_21rocsparse_index_base_b.kd
    .uniform_work_group_size: 1
    .uses_dynamic_stack: false
    .vgpr_count:     23
    .vgpr_spill_count: 0
    .wavefront_size: 32
    .workgroup_processor_mode: 1
  - .args:
      - .offset:         0
        .size:           4
        .value_kind:     by_value
      - .offset:         4
        .size:           4
        .value_kind:     by_value
      - .offset:         8
        .size:           4
        .value_kind:     by_value
      - .offset:         12
        .size:           4
        .value_kind:     by_value
      - .offset:         16
        .size:           4
        .value_kind:     by_value
      - .offset:         20
        .size:           4
        .value_kind:     by_value
      - .offset:         24
        .size:           4
        .value_kind:     by_value
      - .offset:         28
        .size:           4
        .value_kind:     by_value
      - .offset:         32
        .size:           8
        .value_kind:     by_value
      - .actual_access:  read_only
        .address_space:  global
        .offset:         40
        .size:           8
        .value_kind:     global_buffer
      - .offset:         48
        .size:           8
        .value_kind:     by_value
      - .actual_access:  read_only
        .address_space:  global
        .offset:         56
        .size:           8
        .value_kind:     global_buffer
      - .offset:         64
        .size:           8
        .value_kind:     by_value
      - .offset:         72
        .size:           8
        .value_kind:     by_value
      - .address_space:  global
        .offset:         80
        .size:           8
        .value_kind:     global_buffer
      - .actual_access:  read_only
        .address_space:  global
        .offset:         88
        .size:           8
        .value_kind:     global_buffer
      - .actual_access:  read_only
        .address_space:  global
        .offset:         96
        .size:           8
        .value_kind:     global_buffer
      - .offset:         104
        .size:           4
        .value_kind:     by_value
      - .offset:         108
        .size:           1
        .value_kind:     by_value
    .group_segment_fixed_size: 4096
    .kernarg_segment_align: 8
    .kernarg_segment_size: 112
    .language:       OpenCL C
    .language_version:
      - 2
      - 0
    .max_flat_workgroup_size: 512
    .name:           _ZN9rocsparseL17sddmm_coox_kernelILi512ELi1ELb0EdiidddEEv20rocsparse_operation_S1_16rocsparse_order_S2_T4_S3_S3_T3_NS_24const_host_device_scalarIT2_EEPKT5_lPKT6_lS7_PT7_PKS4_SH_21rocsparse_index_base_b
    .private_segment_fixed_size: 0
    .sgpr_count:     18
    .sgpr_spill_count: 0
    .symbol:         _ZN9rocsparseL17sddmm_coox_kernelILi512ELi1ELb0EdiidddEEv20rocsparse_operation_S1_16rocsparse_order_S2_T4_S3_S3_T3_NS_24const_host_device_scalarIT2_EEPKT5_lPKT6_lS7_PT7_PKS4_SH_21rocsparse_index_base_b.kd
    .uniform_work_group_size: 1
    .uses_dynamic_stack: false
    .vgpr_count:     17
    .vgpr_spill_count: 0
    .wavefront_size: 32
    .workgroup_processor_mode: 1
  - .args:
      - .offset:         0
        .size:           4
        .value_kind:     by_value
      - .offset:         4
        .size:           4
        .value_kind:     by_value
      - .offset:         8
        .size:           4
        .value_kind:     by_value
      - .actual_access:  read_only
        .address_space:  global
        .offset:         16
        .size:           8
        .value_kind:     global_buffer
      - .offset:         24
        .size:           4
        .value_kind:     by_value
      - .actual_access:  write_only
        .address_space:  global
        .offset:         32
        .size:           8
        .value_kind:     global_buffer
      - .actual_access:  read_only
        .address_space:  global
        .offset:         40
        .size:           8
        .value_kind:     global_buffer
      - .actual_access:  read_only
        .address_space:  global
        .offset:         48
        .size:           8
        .value_kind:     global_buffer
      - .offset:         56
        .size:           4
        .value_kind:     by_value
      - .offset:         64
        .size:           4
        .value_kind:     hidden_block_count_x
      - .offset:         68
        .size:           4
        .value_kind:     hidden_block_count_y
      - .offset:         72
        .size:           4
        .value_kind:     hidden_block_count_z
      - .offset:         76
        .size:           2
        .value_kind:     hidden_group_size_x
      - .offset:         78
        .size:           2
        .value_kind:     hidden_group_size_y
      - .offset:         80
        .size:           2
        .value_kind:     hidden_group_size_z
      - .offset:         82
        .size:           2
        .value_kind:     hidden_remainder_x
      - .offset:         84
        .size:           2
        .value_kind:     hidden_remainder_y
      - .offset:         86
        .size:           2
        .value_kind:     hidden_remainder_z
      - .offset:         104
        .size:           8
        .value_kind:     hidden_global_offset_x
      - .offset:         112
        .size:           8
        .value_kind:     hidden_global_offset_y
      - .offset:         120
        .size:           8
        .value_kind:     hidden_global_offset_z
      - .offset:         128
        .size:           2
        .value_kind:     hidden_grid_dims
    .group_segment_fixed_size: 0
    .kernarg_segment_align: 8
    .kernarg_segment_size: 320
    .language:       OpenCL C
    .language_version:
      - 2
      - 0
    .max_flat_workgroup_size: 512
    .name:           _ZN9rocsparseL24sddmm_coox_sample_kernelILi512ELb0E21rocsparse_complex_numIfEiiS2_EEvT3_S3_T2_PKT4_S3_PS5_PKS4_SA_21rocsparse_index_base_
    .private_segment_fixed_size: 0
    .sgpr_count:     16
    .sgpr_spill_count: 0
    .symbol:         _ZN9rocsparseL24sddmm_coox_sample_kernelILi512ELb0E21rocsparse_complex_numIfEiiS2_EEvT3_S3_T2_PKT4_S3_PS5_PKS4_SA_21rocsparse_index_base_.kd
    .uniform_work_group_size: 1
    .uses_dynamic_stack: false
    .vgpr_count:     6
    .vgpr_spill_count: 0
    .wavefront_size: 32
    .workgroup_processor_mode: 1
  - .args:
      - .offset:         0
        .size:           4
        .value_kind:     by_value
      - .offset:         4
        .size:           4
        .value_kind:     by_value
      - .offset:         8
        .size:           4
        .value_kind:     by_value
      - .offset:         12
        .size:           4
        .value_kind:     by_value
      - .offset:         16
        .size:           4
        .value_kind:     by_value
      - .offset:         20
        .size:           4
        .value_kind:     by_value
      - .offset:         24
        .size:           4
        .value_kind:     by_value
      - .offset:         28
        .size:           4
        .value_kind:     by_value
      - .offset:         32
        .size:           8
        .value_kind:     by_value
      - .actual_access:  read_only
        .address_space:  global
        .offset:         40
        .size:           8
        .value_kind:     global_buffer
      - .offset:         48
        .size:           8
        .value_kind:     by_value
      - .actual_access:  read_only
        .address_space:  global
        .offset:         56
        .size:           8
        .value_kind:     global_buffer
      - .offset:         64
        .size:           8
        .value_kind:     by_value
      - .offset:         72
        .size:           8
        .value_kind:     by_value
      - .address_space:  global
        .offset:         80
        .size:           8
        .value_kind:     global_buffer
      - .actual_access:  read_only
        .address_space:  global
        .offset:         88
        .size:           8
        .value_kind:     global_buffer
      - .actual_access:  read_only
        .address_space:  global
        .offset:         96
        .size:           8
        .value_kind:     global_buffer
      - .offset:         104
        .size:           4
        .value_kind:     by_value
      - .offset:         108
        .size:           1
        .value_kind:     by_value
    .group_segment_fixed_size: 4096
    .kernarg_segment_align: 8
    .kernarg_segment_size: 112
    .language:       OpenCL C
    .language_version:
      - 2
      - 0
    .max_flat_workgroup_size: 512
    .name:           _ZN9rocsparseL17sddmm_coox_kernelILi512ELi8ELb0E21rocsparse_complex_numIfEiiS2_S2_S2_EEv20rocsparse_operation_S3_16rocsparse_order_S4_T4_S5_S5_T3_NS_24const_host_device_scalarIT2_EEPKT5_lPKT6_lS9_PT7_PKS6_SJ_21rocsparse_index_base_b
    .private_segment_fixed_size: 0
    .sgpr_count:     18
    .sgpr_spill_count: 0
    .symbol:         _ZN9rocsparseL17sddmm_coox_kernelILi512ELi8ELb0E21rocsparse_complex_numIfEiiS2_S2_S2_EEv20rocsparse_operation_S3_16rocsparse_order_S4_T4_S5_S5_T3_NS_24const_host_device_scalarIT2_EEPKT5_lPKT6_lS9_PT7_PKS6_SJ_21rocsparse_index_base_b.kd
    .uniform_work_group_size: 1
    .uses_dynamic_stack: false
    .vgpr_count:     23
    .vgpr_spill_count: 0
    .wavefront_size: 32
    .workgroup_processor_mode: 1
  - .args:
      - .offset:         0
        .size:           4
        .value_kind:     by_value
      - .offset:         4
        .size:           4
        .value_kind:     by_value
      - .offset:         8
        .size:           4
        .value_kind:     by_value
      - .offset:         12
        .size:           4
        .value_kind:     by_value
      - .offset:         16
        .size:           4
        .value_kind:     by_value
      - .offset:         20
        .size:           4
        .value_kind:     by_value
      - .offset:         24
        .size:           4
        .value_kind:     by_value
      - .offset:         28
        .size:           4
        .value_kind:     by_value
      - .offset:         32
        .size:           8
        .value_kind:     by_value
      - .actual_access:  read_only
        .address_space:  global
        .offset:         40
        .size:           8
        .value_kind:     global_buffer
      - .offset:         48
        .size:           8
        .value_kind:     by_value
      - .actual_access:  read_only
        .address_space:  global
        .offset:         56
        .size:           8
        .value_kind:     global_buffer
      - .offset:         64
        .size:           8
        .value_kind:     by_value
      - .offset:         72
        .size:           8
        .value_kind:     by_value
      - .address_space:  global
        .offset:         80
        .size:           8
        .value_kind:     global_buffer
      - .actual_access:  read_only
        .address_space:  global
        .offset:         88
        .size:           8
        .value_kind:     global_buffer
      - .actual_access:  read_only
        .address_space:  global
        .offset:         96
        .size:           8
        .value_kind:     global_buffer
      - .offset:         104
        .size:           4
        .value_kind:     by_value
      - .offset:         108
        .size:           1
        .value_kind:     by_value
    .group_segment_fixed_size: 4096
    .kernarg_segment_align: 8
    .kernarg_segment_size: 112
    .language:       OpenCL C
    .language_version:
      - 2
      - 0
    .max_flat_workgroup_size: 512
    .name:           _ZN9rocsparseL17sddmm_coox_kernelILi512ELi4ELb0E21rocsparse_complex_numIfEiiS2_S2_S2_EEv20rocsparse_operation_S3_16rocsparse_order_S4_T4_S5_S5_T3_NS_24const_host_device_scalarIT2_EEPKT5_lPKT6_lS9_PT7_PKS6_SJ_21rocsparse_index_base_b
    .private_segment_fixed_size: 0
    .sgpr_count:     18
    .sgpr_spill_count: 0
    .symbol:         _ZN9rocsparseL17sddmm_coox_kernelILi512ELi4ELb0E21rocsparse_complex_numIfEiiS2_S2_S2_EEv20rocsparse_operation_S3_16rocsparse_order_S4_T4_S5_S5_T3_NS_24const_host_device_scalarIT2_EEPKT5_lPKT6_lS9_PT7_PKS6_SJ_21rocsparse_index_base_b.kd
    .uniform_work_group_size: 1
    .uses_dynamic_stack: false
    .vgpr_count:     23
    .vgpr_spill_count: 0
    .wavefront_size: 32
    .workgroup_processor_mode: 1
  - .args:
      - .offset:         0
        .size:           4
        .value_kind:     by_value
      - .offset:         4
        .size:           4
        .value_kind:     by_value
      - .offset:         8
        .size:           4
        .value_kind:     by_value
      - .offset:         12
        .size:           4
        .value_kind:     by_value
      - .offset:         16
        .size:           4
        .value_kind:     by_value
      - .offset:         20
        .size:           4
        .value_kind:     by_value
      - .offset:         24
        .size:           4
        .value_kind:     by_value
      - .offset:         28
        .size:           4
        .value_kind:     by_value
      - .offset:         32
        .size:           8
        .value_kind:     by_value
      - .actual_access:  read_only
        .address_space:  global
        .offset:         40
        .size:           8
        .value_kind:     global_buffer
      - .offset:         48
        .size:           8
        .value_kind:     by_value
      - .actual_access:  read_only
        .address_space:  global
        .offset:         56
        .size:           8
        .value_kind:     global_buffer
      - .offset:         64
        .size:           8
        .value_kind:     by_value
      - .offset:         72
        .size:           8
        .value_kind:     by_value
      - .address_space:  global
        .offset:         80
        .size:           8
        .value_kind:     global_buffer
      - .actual_access:  read_only
        .address_space:  global
        .offset:         88
        .size:           8
        .value_kind:     global_buffer
      - .actual_access:  read_only
        .address_space:  global
        .offset:         96
        .size:           8
        .value_kind:     global_buffer
      - .offset:         104
        .size:           4
        .value_kind:     by_value
      - .offset:         108
        .size:           1
        .value_kind:     by_value
    .group_segment_fixed_size: 4096
    .kernarg_segment_align: 8
    .kernarg_segment_size: 112
    .language:       OpenCL C
    .language_version:
      - 2
      - 0
    .max_flat_workgroup_size: 512
    .name:           _ZN9rocsparseL17sddmm_coox_kernelILi512ELi2ELb0E21rocsparse_complex_numIfEiiS2_S2_S2_EEv20rocsparse_operation_S3_16rocsparse_order_S4_T4_S5_S5_T3_NS_24const_host_device_scalarIT2_EEPKT5_lPKT6_lS9_PT7_PKS6_SJ_21rocsparse_index_base_b
    .private_segment_fixed_size: 0
    .sgpr_count:     18
    .sgpr_spill_count: 0
    .symbol:         _ZN9rocsparseL17sddmm_coox_kernelILi512ELi2ELb0E21rocsparse_complex_numIfEiiS2_S2_S2_EEv20rocsparse_operation_S3_16rocsparse_order_S4_T4_S5_S5_T3_NS_24const_host_device_scalarIT2_EEPKT5_lPKT6_lS9_PT7_PKS6_SJ_21rocsparse_index_base_b.kd
    .uniform_work_group_size: 1
    .uses_dynamic_stack: false
    .vgpr_count:     23
    .vgpr_spill_count: 0
    .wavefront_size: 32
    .workgroup_processor_mode: 1
  - .args:
      - .offset:         0
        .size:           4
        .value_kind:     by_value
      - .offset:         4
        .size:           4
        .value_kind:     by_value
      - .offset:         8
        .size:           4
        .value_kind:     by_value
      - .offset:         12
        .size:           4
        .value_kind:     by_value
      - .offset:         16
        .size:           4
        .value_kind:     by_value
      - .offset:         20
        .size:           4
        .value_kind:     by_value
      - .offset:         24
        .size:           4
        .value_kind:     by_value
      - .offset:         28
        .size:           4
        .value_kind:     by_value
      - .offset:         32
        .size:           8
        .value_kind:     by_value
      - .actual_access:  read_only
        .address_space:  global
        .offset:         40
        .size:           8
        .value_kind:     global_buffer
      - .offset:         48
        .size:           8
        .value_kind:     by_value
      - .actual_access:  read_only
        .address_space:  global
        .offset:         56
        .size:           8
        .value_kind:     global_buffer
      - .offset:         64
        .size:           8
        .value_kind:     by_value
      - .offset:         72
        .size:           8
        .value_kind:     by_value
      - .address_space:  global
        .offset:         80
        .size:           8
        .value_kind:     global_buffer
      - .actual_access:  read_only
        .address_space:  global
        .offset:         88
        .size:           8
        .value_kind:     global_buffer
      - .actual_access:  read_only
        .address_space:  global
        .offset:         96
        .size:           8
        .value_kind:     global_buffer
      - .offset:         104
        .size:           4
        .value_kind:     by_value
      - .offset:         108
        .size:           1
        .value_kind:     by_value
    .group_segment_fixed_size: 4096
    .kernarg_segment_align: 8
    .kernarg_segment_size: 112
    .language:       OpenCL C
    .language_version:
      - 2
      - 0
    .max_flat_workgroup_size: 512
    .name:           _ZN9rocsparseL17sddmm_coox_kernelILi512ELi1ELb0E21rocsparse_complex_numIfEiiS2_S2_S2_EEv20rocsparse_operation_S3_16rocsparse_order_S4_T4_S5_S5_T3_NS_24const_host_device_scalarIT2_EEPKT5_lPKT6_lS9_PT7_PKS6_SJ_21rocsparse_index_base_b
    .private_segment_fixed_size: 0
    .sgpr_count:     18
    .sgpr_spill_count: 0
    .symbol:         _ZN9rocsparseL17sddmm_coox_kernelILi512ELi1ELb0E21rocsparse_complex_numIfEiiS2_S2_S2_EEv20rocsparse_operation_S3_16rocsparse_order_S4_T4_S5_S5_T3_NS_24const_host_device_scalarIT2_EEPKT5_lPKT6_lS9_PT7_PKS6_SJ_21rocsparse_index_base_b.kd
    .uniform_work_group_size: 1
    .uses_dynamic_stack: false
    .vgpr_count:     18
    .vgpr_spill_count: 0
    .wavefront_size: 32
    .workgroup_processor_mode: 1
  - .args:
      - .offset:         0
        .size:           4
        .value_kind:     by_value
      - .offset:         4
        .size:           4
        .value_kind:     by_value
      - .offset:         8
        .size:           4
        .value_kind:     by_value
      - .actual_access:  read_only
        .address_space:  global
        .offset:         16
        .size:           8
        .value_kind:     global_buffer
      - .offset:         24
        .size:           4
        .value_kind:     by_value
      - .actual_access:  write_only
        .address_space:  global
        .offset:         32
        .size:           8
        .value_kind:     global_buffer
      - .actual_access:  read_only
        .address_space:  global
        .offset:         40
        .size:           8
        .value_kind:     global_buffer
      - .actual_access:  read_only
        .address_space:  global
        .offset:         48
        .size:           8
        .value_kind:     global_buffer
      - .offset:         56
        .size:           4
        .value_kind:     by_value
      - .offset:         64
        .size:           4
        .value_kind:     hidden_block_count_x
      - .offset:         68
        .size:           4
        .value_kind:     hidden_block_count_y
      - .offset:         72
        .size:           4
        .value_kind:     hidden_block_count_z
      - .offset:         76
        .size:           2
        .value_kind:     hidden_group_size_x
      - .offset:         78
        .size:           2
        .value_kind:     hidden_group_size_y
      - .offset:         80
        .size:           2
        .value_kind:     hidden_group_size_z
      - .offset:         82
        .size:           2
        .value_kind:     hidden_remainder_x
      - .offset:         84
        .size:           2
        .value_kind:     hidden_remainder_y
      - .offset:         86
        .size:           2
        .value_kind:     hidden_remainder_z
      - .offset:         104
        .size:           8
        .value_kind:     hidden_global_offset_x
      - .offset:         112
        .size:           8
        .value_kind:     hidden_global_offset_y
      - .offset:         120
        .size:           8
        .value_kind:     hidden_global_offset_z
      - .offset:         128
        .size:           2
        .value_kind:     hidden_grid_dims
    .group_segment_fixed_size: 0
    .kernarg_segment_align: 8
    .kernarg_segment_size: 320
    .language:       OpenCL C
    .language_version:
      - 2
      - 0
    .max_flat_workgroup_size: 512
    .name:           _ZN9rocsparseL24sddmm_coox_sample_kernelILi512ELb0E21rocsparse_complex_numIdEiiS2_EEvT3_S3_T2_PKT4_S3_PS5_PKS4_SA_21rocsparse_index_base_
    .private_segment_fixed_size: 0
    .sgpr_count:     16
    .sgpr_spill_count: 0
    .symbol:         _ZN9rocsparseL24sddmm_coox_sample_kernelILi512ELb0E21rocsparse_complex_numIdEiiS2_EEvT3_S3_T2_PKT4_S3_PS5_PKS4_SA_21rocsparse_index_base_.kd
    .uniform_work_group_size: 1
    .uses_dynamic_stack: false
    .vgpr_count:     8
    .vgpr_spill_count: 0
    .wavefront_size: 32
    .workgroup_processor_mode: 1
  - .args:
      - .offset:         0
        .size:           4
        .value_kind:     by_value
      - .offset:         4
        .size:           4
        .value_kind:     by_value
      - .offset:         8
        .size:           4
        .value_kind:     by_value
      - .offset:         12
        .size:           4
        .value_kind:     by_value
      - .offset:         16
        .size:           4
        .value_kind:     by_value
      - .offset:         20
        .size:           4
        .value_kind:     by_value
      - .offset:         24
        .size:           4
        .value_kind:     by_value
      - .offset:         28
        .size:           4
        .value_kind:     by_value
      - .offset:         32
        .size:           16
        .value_kind:     by_value
      - .actual_access:  read_only
        .address_space:  global
        .offset:         48
        .size:           8
        .value_kind:     global_buffer
      - .offset:         56
        .size:           8
        .value_kind:     by_value
      - .actual_access:  read_only
        .address_space:  global
        .offset:         64
        .size:           8
        .value_kind:     global_buffer
      - .offset:         72
        .size:           8
        .value_kind:     by_value
      - .offset:         80
        .size:           16
        .value_kind:     by_value
      - .address_space:  global
        .offset:         96
        .size:           8
        .value_kind:     global_buffer
      - .actual_access:  read_only
        .address_space:  global
        .offset:         104
        .size:           8
        .value_kind:     global_buffer
      - .actual_access:  read_only
        .address_space:  global
        .offset:         112
        .size:           8
        .value_kind:     global_buffer
      - .offset:         120
        .size:           4
        .value_kind:     by_value
      - .offset:         124
        .size:           1
        .value_kind:     by_value
    .group_segment_fixed_size: 8192
    .kernarg_segment_align: 8
    .kernarg_segment_size: 128
    .language:       OpenCL C
    .language_version:
      - 2
      - 0
    .max_flat_workgroup_size: 512
    .name:           _ZN9rocsparseL17sddmm_coox_kernelILi512ELi8ELb0E21rocsparse_complex_numIdEiiS2_S2_S2_EEv20rocsparse_operation_S3_16rocsparse_order_S4_T4_S5_S5_T3_NS_24const_host_device_scalarIT2_EEPKT5_lPKT6_lS9_PT7_PKS6_SJ_21rocsparse_index_base_b
    .private_segment_fixed_size: 0
    .sgpr_count:     18
    .sgpr_spill_count: 0
    .symbol:         _ZN9rocsparseL17sddmm_coox_kernelILi512ELi8ELb0E21rocsparse_complex_numIdEiiS2_S2_S2_EEv20rocsparse_operation_S3_16rocsparse_order_S4_T4_S5_S5_T3_NS_24const_host_device_scalarIT2_EEPKT5_lPKT6_lS9_PT7_PKS6_SJ_21rocsparse_index_base_b.kd
    .uniform_work_group_size: 1
    .uses_dynamic_stack: false
    .vgpr_count:     35
    .vgpr_spill_count: 0
    .wavefront_size: 32
    .workgroup_processor_mode: 1
  - .args:
      - .offset:         0
        .size:           4
        .value_kind:     by_value
      - .offset:         4
        .size:           4
        .value_kind:     by_value
      - .offset:         8
        .size:           4
        .value_kind:     by_value
      - .offset:         12
        .size:           4
        .value_kind:     by_value
      - .offset:         16
        .size:           4
        .value_kind:     by_value
      - .offset:         20
        .size:           4
        .value_kind:     by_value
      - .offset:         24
        .size:           4
        .value_kind:     by_value
      - .offset:         28
        .size:           4
        .value_kind:     by_value
      - .offset:         32
        .size:           16
        .value_kind:     by_value
      - .actual_access:  read_only
        .address_space:  global
        .offset:         48
        .size:           8
        .value_kind:     global_buffer
      - .offset:         56
        .size:           8
        .value_kind:     by_value
      - .actual_access:  read_only
        .address_space:  global
        .offset:         64
        .size:           8
        .value_kind:     global_buffer
      - .offset:         72
        .size:           8
        .value_kind:     by_value
      - .offset:         80
        .size:           16
        .value_kind:     by_value
      - .address_space:  global
        .offset:         96
        .size:           8
        .value_kind:     global_buffer
      - .actual_access:  read_only
        .address_space:  global
        .offset:         104
        .size:           8
        .value_kind:     global_buffer
      - .actual_access:  read_only
        .address_space:  global
        .offset:         112
        .size:           8
        .value_kind:     global_buffer
      - .offset:         120
        .size:           4
        .value_kind:     by_value
      - .offset:         124
        .size:           1
        .value_kind:     by_value
    .group_segment_fixed_size: 8192
    .kernarg_segment_align: 8
    .kernarg_segment_size: 128
    .language:       OpenCL C
    .language_version:
      - 2
      - 0
    .max_flat_workgroup_size: 512
    .name:           _ZN9rocsparseL17sddmm_coox_kernelILi512ELi4ELb0E21rocsparse_complex_numIdEiiS2_S2_S2_EEv20rocsparse_operation_S3_16rocsparse_order_S4_T4_S5_S5_T3_NS_24const_host_device_scalarIT2_EEPKT5_lPKT6_lS9_PT7_PKS6_SJ_21rocsparse_index_base_b
    .private_segment_fixed_size: 0
    .sgpr_count:     18
    .sgpr_spill_count: 0
    .symbol:         _ZN9rocsparseL17sddmm_coox_kernelILi512ELi4ELb0E21rocsparse_complex_numIdEiiS2_S2_S2_EEv20rocsparse_operation_S3_16rocsparse_order_S4_T4_S5_S5_T3_NS_24const_host_device_scalarIT2_EEPKT5_lPKT6_lS9_PT7_PKS6_SJ_21rocsparse_index_base_b.kd
    .uniform_work_group_size: 1
    .uses_dynamic_stack: false
    .vgpr_count:     35
    .vgpr_spill_count: 0
    .wavefront_size: 32
    .workgroup_processor_mode: 1
  - .args:
      - .offset:         0
        .size:           4
        .value_kind:     by_value
      - .offset:         4
        .size:           4
        .value_kind:     by_value
      - .offset:         8
        .size:           4
        .value_kind:     by_value
      - .offset:         12
        .size:           4
        .value_kind:     by_value
      - .offset:         16
        .size:           4
        .value_kind:     by_value
      - .offset:         20
        .size:           4
        .value_kind:     by_value
      - .offset:         24
        .size:           4
        .value_kind:     by_value
      - .offset:         28
        .size:           4
        .value_kind:     by_value
      - .offset:         32
        .size:           16
        .value_kind:     by_value
      - .actual_access:  read_only
        .address_space:  global
        .offset:         48
        .size:           8
        .value_kind:     global_buffer
      - .offset:         56
        .size:           8
        .value_kind:     by_value
      - .actual_access:  read_only
        .address_space:  global
        .offset:         64
        .size:           8
        .value_kind:     global_buffer
      - .offset:         72
        .size:           8
        .value_kind:     by_value
      - .offset:         80
        .size:           16
        .value_kind:     by_value
      - .address_space:  global
        .offset:         96
        .size:           8
        .value_kind:     global_buffer
      - .actual_access:  read_only
        .address_space:  global
        .offset:         104
        .size:           8
        .value_kind:     global_buffer
      - .actual_access:  read_only
        .address_space:  global
        .offset:         112
        .size:           8
        .value_kind:     global_buffer
      - .offset:         120
        .size:           4
        .value_kind:     by_value
      - .offset:         124
        .size:           1
        .value_kind:     by_value
    .group_segment_fixed_size: 8192
    .kernarg_segment_align: 8
    .kernarg_segment_size: 128
    .language:       OpenCL C
    .language_version:
      - 2
      - 0
    .max_flat_workgroup_size: 512
    .name:           _ZN9rocsparseL17sddmm_coox_kernelILi512ELi2ELb0E21rocsparse_complex_numIdEiiS2_S2_S2_EEv20rocsparse_operation_S3_16rocsparse_order_S4_T4_S5_S5_T3_NS_24const_host_device_scalarIT2_EEPKT5_lPKT6_lS9_PT7_PKS6_SJ_21rocsparse_index_base_b
    .private_segment_fixed_size: 0
    .sgpr_count:     18
    .sgpr_spill_count: 0
    .symbol:         _ZN9rocsparseL17sddmm_coox_kernelILi512ELi2ELb0E21rocsparse_complex_numIdEiiS2_S2_S2_EEv20rocsparse_operation_S3_16rocsparse_order_S4_T4_S5_S5_T3_NS_24const_host_device_scalarIT2_EEPKT5_lPKT6_lS9_PT7_PKS6_SJ_21rocsparse_index_base_b.kd
    .uniform_work_group_size: 1
    .uses_dynamic_stack: false
    .vgpr_count:     35
    .vgpr_spill_count: 0
    .wavefront_size: 32
    .workgroup_processor_mode: 1
  - .args:
      - .offset:         0
        .size:           4
        .value_kind:     by_value
      - .offset:         4
        .size:           4
        .value_kind:     by_value
      - .offset:         8
        .size:           4
        .value_kind:     by_value
      - .offset:         12
        .size:           4
        .value_kind:     by_value
      - .offset:         16
        .size:           4
        .value_kind:     by_value
      - .offset:         20
        .size:           4
        .value_kind:     by_value
      - .offset:         24
        .size:           4
        .value_kind:     by_value
      - .offset:         28
        .size:           4
        .value_kind:     by_value
      - .offset:         32
        .size:           16
        .value_kind:     by_value
      - .actual_access:  read_only
        .address_space:  global
        .offset:         48
        .size:           8
        .value_kind:     global_buffer
      - .offset:         56
        .size:           8
        .value_kind:     by_value
      - .actual_access:  read_only
        .address_space:  global
        .offset:         64
        .size:           8
        .value_kind:     global_buffer
      - .offset:         72
        .size:           8
        .value_kind:     by_value
      - .offset:         80
        .size:           16
        .value_kind:     by_value
      - .address_space:  global
        .offset:         96
        .size:           8
        .value_kind:     global_buffer
      - .actual_access:  read_only
        .address_space:  global
        .offset:         104
        .size:           8
        .value_kind:     global_buffer
      - .actual_access:  read_only
        .address_space:  global
        .offset:         112
        .size:           8
        .value_kind:     global_buffer
      - .offset:         120
        .size:           4
        .value_kind:     by_value
      - .offset:         124
        .size:           1
        .value_kind:     by_value
    .group_segment_fixed_size: 8192
    .kernarg_segment_align: 8
    .kernarg_segment_size: 128
    .language:       OpenCL C
    .language_version:
      - 2
      - 0
    .max_flat_workgroup_size: 512
    .name:           _ZN9rocsparseL17sddmm_coox_kernelILi512ELi1ELb0E21rocsparse_complex_numIdEiiS2_S2_S2_EEv20rocsparse_operation_S3_16rocsparse_order_S4_T4_S5_S5_T3_NS_24const_host_device_scalarIT2_EEPKT5_lPKT6_lS9_PT7_PKS6_SJ_21rocsparse_index_base_b
    .private_segment_fixed_size: 0
    .sgpr_count:     18
    .sgpr_spill_count: 0
    .symbol:         _ZN9rocsparseL17sddmm_coox_kernelILi512ELi1ELb0E21rocsparse_complex_numIdEiiS2_S2_S2_EEv20rocsparse_operation_S3_16rocsparse_order_S4_T4_S5_S5_T3_NS_24const_host_device_scalarIT2_EEPKT5_lPKT6_lS9_PT7_PKS6_SJ_21rocsparse_index_base_b.kd
    .uniform_work_group_size: 1
    .uses_dynamic_stack: false
    .vgpr_count:     29
    .vgpr_spill_count: 0
    .wavefront_size: 32
    .workgroup_processor_mode: 1
  - .args:
      - .offset:         0
        .size:           8
        .value_kind:     by_value
      - .offset:         8
        .size:           8
        .value_kind:     by_value
      - .offset:         16
        .size:           8
        .value_kind:     by_value
      - .actual_access:  read_only
        .address_space:  global
        .offset:         24
        .size:           8
        .value_kind:     global_buffer
      - .offset:         32
        .size:           8
        .value_kind:     by_value
      - .actual_access:  write_only
        .address_space:  global
        .offset:         40
        .size:           8
        .value_kind:     global_buffer
      - .actual_access:  read_only
        .address_space:  global
        .offset:         48
        .size:           8
        .value_kind:     global_buffer
      - .actual_access:  read_only
        .address_space:  global
        .offset:         56
        .size:           8
        .value_kind:     global_buffer
      - .offset:         64
        .size:           4
        .value_kind:     by_value
      - .offset:         72
        .size:           4
        .value_kind:     hidden_block_count_x
      - .offset:         76
        .size:           4
        .value_kind:     hidden_block_count_y
      - .offset:         80
        .size:           4
        .value_kind:     hidden_block_count_z
      - .offset:         84
        .size:           2
        .value_kind:     hidden_group_size_x
      - .offset:         86
        .size:           2
        .value_kind:     hidden_group_size_y
      - .offset:         88
        .size:           2
        .value_kind:     hidden_group_size_z
      - .offset:         90
        .size:           2
        .value_kind:     hidden_remainder_x
      - .offset:         92
        .size:           2
        .value_kind:     hidden_remainder_y
      - .offset:         94
        .size:           2
        .value_kind:     hidden_remainder_z
      - .offset:         112
        .size:           8
        .value_kind:     hidden_global_offset_x
      - .offset:         120
        .size:           8
        .value_kind:     hidden_global_offset_y
      - .offset:         128
        .size:           8
        .value_kind:     hidden_global_offset_z
      - .offset:         136
        .size:           2
        .value_kind:     hidden_grid_dims
    .group_segment_fixed_size: 0
    .kernarg_segment_align: 8
    .kernarg_segment_size: 328
    .language:       OpenCL C
    .language_version:
      - 2
      - 0
    .max_flat_workgroup_size: 512
    .name:           _ZN9rocsparseL24sddmm_coox_sample_kernelILi512ELb0EDF16_llDF16_EEvT3_S1_T2_PKT4_S1_PS3_PKS2_S8_21rocsparse_index_base_
    .private_segment_fixed_size: 0
    .sgpr_count:     18
    .sgpr_spill_count: 0
    .symbol:         _ZN9rocsparseL24sddmm_coox_sample_kernelILi512ELb0EDF16_llDF16_EEvT3_S1_T2_PKT4_S1_PS3_PKS2_S8_21rocsparse_index_base_.kd
    .uniform_work_group_size: 1
    .uses_dynamic_stack: false
    .vgpr_count:     10
    .vgpr_spill_count: 0
    .wavefront_size: 32
    .workgroup_processor_mode: 1
  - .args:
      - .offset:         0
        .size:           4
        .value_kind:     by_value
      - .offset:         4
        .size:           4
        .value_kind:     by_value
      - .offset:         8
        .size:           4
        .value_kind:     by_value
      - .offset:         12
        .size:           4
        .value_kind:     by_value
      - .offset:         16
        .size:           8
        .value_kind:     by_value
      - .offset:         24
        .size:           8
        .value_kind:     by_value
      - .offset:         32
        .size:           8
        .value_kind:     by_value
      - .offset:         40
        .size:           8
        .value_kind:     by_value
      - .offset:         48
        .size:           8
        .value_kind:     by_value
      - .actual_access:  read_only
        .address_space:  global
        .offset:         56
        .size:           8
        .value_kind:     global_buffer
      - .offset:         64
        .size:           8
        .value_kind:     by_value
      - .actual_access:  read_only
        .address_space:  global
        .offset:         72
        .size:           8
        .value_kind:     global_buffer
      - .offset:         80
        .size:           8
        .value_kind:     by_value
      - .offset:         88
        .size:           8
        .value_kind:     by_value
      - .address_space:  global
        .offset:         96
        .size:           8
        .value_kind:     global_buffer
      - .actual_access:  read_only
        .address_space:  global
        .offset:         104
        .size:           8
        .value_kind:     global_buffer
      - .actual_access:  read_only
        .address_space:  global
        .offset:         112
        .size:           8
        .value_kind:     global_buffer
      - .offset:         120
        .size:           4
        .value_kind:     by_value
      - .offset:         124
        .size:           1
        .value_kind:     by_value
    .group_segment_fixed_size: 1024
    .kernarg_segment_align: 8
    .kernarg_segment_size: 128
    .language:       OpenCL C
    .language_version:
      - 2
      - 0
    .max_flat_workgroup_size: 512
    .name:           _ZN9rocsparseL17sddmm_coox_kernelILi512ELi8ELb0EDF16_llDF16_DF16_DF16_EEv20rocsparse_operation_S1_16rocsparse_order_S2_T4_S3_S3_T3_NS_24const_host_device_scalarIT2_EEPKT5_lPKT6_lS7_PT7_PKS4_SH_21rocsparse_index_base_b
    .private_segment_fixed_size: 0
    .sgpr_count:     20
    .sgpr_spill_count: 0
    .symbol:         _ZN9rocsparseL17sddmm_coox_kernelILi512ELi8ELb0EDF16_llDF16_DF16_DF16_EEv20rocsparse_operation_S1_16rocsparse_order_S2_T4_S3_S3_T3_NS_24const_host_device_scalarIT2_EEPKT5_lPKT6_lS7_PT7_PKS4_SH_21rocsparse_index_base_b.kd
    .uniform_work_group_size: 1
    .uses_dynamic_stack: false
    .vgpr_count:     19
    .vgpr_spill_count: 0
    .wavefront_size: 32
    .workgroup_processor_mode: 1
  - .args:
      - .offset:         0
        .size:           4
        .value_kind:     by_value
      - .offset:         4
        .size:           4
        .value_kind:     by_value
      - .offset:         8
        .size:           4
        .value_kind:     by_value
      - .offset:         12
        .size:           4
        .value_kind:     by_value
      - .offset:         16
        .size:           8
        .value_kind:     by_value
      - .offset:         24
        .size:           8
        .value_kind:     by_value
      - .offset:         32
        .size:           8
        .value_kind:     by_value
      - .offset:         40
        .size:           8
        .value_kind:     by_value
      - .offset:         48
        .size:           8
        .value_kind:     by_value
      - .actual_access:  read_only
        .address_space:  global
        .offset:         56
        .size:           8
        .value_kind:     global_buffer
      - .offset:         64
        .size:           8
        .value_kind:     by_value
      - .actual_access:  read_only
        .address_space:  global
        .offset:         72
        .size:           8
        .value_kind:     global_buffer
      - .offset:         80
        .size:           8
        .value_kind:     by_value
      - .offset:         88
        .size:           8
        .value_kind:     by_value
      - .address_space:  global
        .offset:         96
        .size:           8
        .value_kind:     global_buffer
      - .actual_access:  read_only
        .address_space:  global
        .offset:         104
        .size:           8
        .value_kind:     global_buffer
      - .actual_access:  read_only
        .address_space:  global
        .offset:         112
        .size:           8
        .value_kind:     global_buffer
      - .offset:         120
        .size:           4
        .value_kind:     by_value
      - .offset:         124
        .size:           1
        .value_kind:     by_value
    .group_segment_fixed_size: 1024
    .kernarg_segment_align: 8
    .kernarg_segment_size: 128
    .language:       OpenCL C
    .language_version:
      - 2
      - 0
    .max_flat_workgroup_size: 512
    .name:           _ZN9rocsparseL17sddmm_coox_kernelILi512ELi4ELb0EDF16_llDF16_DF16_DF16_EEv20rocsparse_operation_S1_16rocsparse_order_S2_T4_S3_S3_T3_NS_24const_host_device_scalarIT2_EEPKT5_lPKT6_lS7_PT7_PKS4_SH_21rocsparse_index_base_b
    .private_segment_fixed_size: 0
    .sgpr_count:     20
    .sgpr_spill_count: 0
    .symbol:         _ZN9rocsparseL17sddmm_coox_kernelILi512ELi4ELb0EDF16_llDF16_DF16_DF16_EEv20rocsparse_operation_S1_16rocsparse_order_S2_T4_S3_S3_T3_NS_24const_host_device_scalarIT2_EEPKT5_lPKT6_lS7_PT7_PKS4_SH_21rocsparse_index_base_b.kd
    .uniform_work_group_size: 1
    .uses_dynamic_stack: false
    .vgpr_count:     19
    .vgpr_spill_count: 0
    .wavefront_size: 32
    .workgroup_processor_mode: 1
  - .args:
      - .offset:         0
        .size:           4
        .value_kind:     by_value
      - .offset:         4
        .size:           4
        .value_kind:     by_value
      - .offset:         8
        .size:           4
        .value_kind:     by_value
      - .offset:         12
        .size:           4
        .value_kind:     by_value
      - .offset:         16
        .size:           8
        .value_kind:     by_value
      - .offset:         24
        .size:           8
        .value_kind:     by_value
      - .offset:         32
        .size:           8
        .value_kind:     by_value
      - .offset:         40
        .size:           8
        .value_kind:     by_value
      - .offset:         48
        .size:           8
        .value_kind:     by_value
      - .actual_access:  read_only
        .address_space:  global
        .offset:         56
        .size:           8
        .value_kind:     global_buffer
      - .offset:         64
        .size:           8
        .value_kind:     by_value
      - .actual_access:  read_only
        .address_space:  global
        .offset:         72
        .size:           8
        .value_kind:     global_buffer
      - .offset:         80
        .size:           8
        .value_kind:     by_value
      - .offset:         88
        .size:           8
        .value_kind:     by_value
      - .address_space:  global
        .offset:         96
        .size:           8
        .value_kind:     global_buffer
      - .actual_access:  read_only
        .address_space:  global
        .offset:         104
        .size:           8
        .value_kind:     global_buffer
      - .actual_access:  read_only
        .address_space:  global
        .offset:         112
        .size:           8
        .value_kind:     global_buffer
      - .offset:         120
        .size:           4
        .value_kind:     by_value
      - .offset:         124
        .size:           1
        .value_kind:     by_value
    .group_segment_fixed_size: 1024
    .kernarg_segment_align: 8
    .kernarg_segment_size: 128
    .language:       OpenCL C
    .language_version:
      - 2
      - 0
    .max_flat_workgroup_size: 512
    .name:           _ZN9rocsparseL17sddmm_coox_kernelILi512ELi2ELb0EDF16_llDF16_DF16_DF16_EEv20rocsparse_operation_S1_16rocsparse_order_S2_T4_S3_S3_T3_NS_24const_host_device_scalarIT2_EEPKT5_lPKT6_lS7_PT7_PKS4_SH_21rocsparse_index_base_b
    .private_segment_fixed_size: 0
    .sgpr_count:     20
    .sgpr_spill_count: 0
    .symbol:         _ZN9rocsparseL17sddmm_coox_kernelILi512ELi2ELb0EDF16_llDF16_DF16_DF16_EEv20rocsparse_operation_S1_16rocsparse_order_S2_T4_S3_S3_T3_NS_24const_host_device_scalarIT2_EEPKT5_lPKT6_lS7_PT7_PKS4_SH_21rocsparse_index_base_b.kd
    .uniform_work_group_size: 1
    .uses_dynamic_stack: false
    .vgpr_count:     18
    .vgpr_spill_count: 0
    .wavefront_size: 32
    .workgroup_processor_mode: 1
  - .args:
      - .offset:         0
        .size:           4
        .value_kind:     by_value
      - .offset:         4
        .size:           4
        .value_kind:     by_value
      - .offset:         8
        .size:           4
        .value_kind:     by_value
      - .offset:         12
        .size:           4
        .value_kind:     by_value
      - .offset:         16
        .size:           8
        .value_kind:     by_value
      - .offset:         24
        .size:           8
        .value_kind:     by_value
      - .offset:         32
        .size:           8
        .value_kind:     by_value
      - .offset:         40
        .size:           8
        .value_kind:     by_value
      - .offset:         48
        .size:           8
        .value_kind:     by_value
      - .actual_access:  read_only
        .address_space:  global
        .offset:         56
        .size:           8
        .value_kind:     global_buffer
      - .offset:         64
        .size:           8
        .value_kind:     by_value
      - .actual_access:  read_only
        .address_space:  global
        .offset:         72
        .size:           8
        .value_kind:     global_buffer
      - .offset:         80
        .size:           8
        .value_kind:     by_value
      - .offset:         88
        .size:           8
        .value_kind:     by_value
      - .address_space:  global
        .offset:         96
        .size:           8
        .value_kind:     global_buffer
      - .actual_access:  read_only
        .address_space:  global
        .offset:         104
        .size:           8
        .value_kind:     global_buffer
      - .actual_access:  read_only
        .address_space:  global
        .offset:         112
        .size:           8
        .value_kind:     global_buffer
      - .offset:         120
        .size:           4
        .value_kind:     by_value
      - .offset:         124
        .size:           1
        .value_kind:     by_value
    .group_segment_fixed_size: 1024
    .kernarg_segment_align: 8
    .kernarg_segment_size: 128
    .language:       OpenCL C
    .language_version:
      - 2
      - 0
    .max_flat_workgroup_size: 512
    .name:           _ZN9rocsparseL17sddmm_coox_kernelILi512ELi1ELb0EDF16_llDF16_DF16_DF16_EEv20rocsparse_operation_S1_16rocsparse_order_S2_T4_S3_S3_T3_NS_24const_host_device_scalarIT2_EEPKT5_lPKT6_lS7_PT7_PKS4_SH_21rocsparse_index_base_b
    .private_segment_fixed_size: 0
    .sgpr_count:     20
    .sgpr_spill_count: 0
    .symbol:         _ZN9rocsparseL17sddmm_coox_kernelILi512ELi1ELb0EDF16_llDF16_DF16_DF16_EEv20rocsparse_operation_S1_16rocsparse_order_S2_T4_S3_S3_T3_NS_24const_host_device_scalarIT2_EEPKT5_lPKT6_lS7_PT7_PKS4_SH_21rocsparse_index_base_b.kd
    .uniform_work_group_size: 1
    .uses_dynamic_stack: false
    .vgpr_count:     13
    .vgpr_spill_count: 0
    .wavefront_size: 32
    .workgroup_processor_mode: 1
  - .args:
      - .offset:         0
        .size:           8
        .value_kind:     by_value
      - .offset:         8
        .size:           8
        .value_kind:     by_value
      - .offset:         16
        .size:           8
        .value_kind:     by_value
      - .actual_access:  read_only
        .address_space:  global
        .offset:         24
        .size:           8
        .value_kind:     global_buffer
      - .offset:         32
        .size:           8
        .value_kind:     by_value
      - .actual_access:  write_only
        .address_space:  global
        .offset:         40
        .size:           8
        .value_kind:     global_buffer
      - .actual_access:  read_only
        .address_space:  global
        .offset:         48
        .size:           8
        .value_kind:     global_buffer
      - .actual_access:  read_only
        .address_space:  global
        .offset:         56
        .size:           8
        .value_kind:     global_buffer
      - .offset:         64
        .size:           4
        .value_kind:     by_value
      - .offset:         72
        .size:           4
        .value_kind:     hidden_block_count_x
      - .offset:         76
        .size:           4
        .value_kind:     hidden_block_count_y
      - .offset:         80
        .size:           4
        .value_kind:     hidden_block_count_z
      - .offset:         84
        .size:           2
        .value_kind:     hidden_group_size_x
      - .offset:         86
        .size:           2
        .value_kind:     hidden_group_size_y
      - .offset:         88
        .size:           2
        .value_kind:     hidden_group_size_z
      - .offset:         90
        .size:           2
        .value_kind:     hidden_remainder_x
      - .offset:         92
        .size:           2
        .value_kind:     hidden_remainder_y
      - .offset:         94
        .size:           2
        .value_kind:     hidden_remainder_z
      - .offset:         112
        .size:           8
        .value_kind:     hidden_global_offset_x
      - .offset:         120
        .size:           8
        .value_kind:     hidden_global_offset_y
      - .offset:         128
        .size:           8
        .value_kind:     hidden_global_offset_z
      - .offset:         136
        .size:           2
        .value_kind:     hidden_grid_dims
    .group_segment_fixed_size: 0
    .kernarg_segment_align: 8
    .kernarg_segment_size: 328
    .language:       OpenCL C
    .language_version:
      - 2
      - 0
    .max_flat_workgroup_size: 512
    .name:           _ZN9rocsparseL24sddmm_coox_sample_kernelILi512ELb0EfllfEEvT3_S1_T2_PKT4_S1_PS3_PKS2_S8_21rocsparse_index_base_
    .private_segment_fixed_size: 0
    .sgpr_count:     18
    .sgpr_spill_count: 0
    .symbol:         _ZN9rocsparseL24sddmm_coox_sample_kernelILi512ELb0EfllfEEvT3_S1_T2_PKT4_S1_PS3_PKS2_S8_21rocsparse_index_base_.kd
    .uniform_work_group_size: 1
    .uses_dynamic_stack: false
    .vgpr_count:     10
    .vgpr_spill_count: 0
    .wavefront_size: 32
    .workgroup_processor_mode: 1
  - .args:
      - .offset:         0
        .size:           4
        .value_kind:     by_value
      - .offset:         4
        .size:           4
        .value_kind:     by_value
      - .offset:         8
        .size:           4
        .value_kind:     by_value
      - .offset:         12
        .size:           4
        .value_kind:     by_value
      - .offset:         16
        .size:           8
        .value_kind:     by_value
      - .offset:         24
        .size:           8
        .value_kind:     by_value
      - .offset:         32
        .size:           8
        .value_kind:     by_value
      - .offset:         40
        .size:           8
        .value_kind:     by_value
      - .offset:         48
        .size:           8
        .value_kind:     by_value
      - .actual_access:  read_only
        .address_space:  global
        .offset:         56
        .size:           8
        .value_kind:     global_buffer
      - .offset:         64
        .size:           8
        .value_kind:     by_value
      - .actual_access:  read_only
        .address_space:  global
        .offset:         72
        .size:           8
        .value_kind:     global_buffer
      - .offset:         80
        .size:           8
        .value_kind:     by_value
      - .offset:         88
        .size:           8
        .value_kind:     by_value
      - .address_space:  global
        .offset:         96
        .size:           8
        .value_kind:     global_buffer
      - .actual_access:  read_only
        .address_space:  global
        .offset:         104
        .size:           8
        .value_kind:     global_buffer
      - .actual_access:  read_only
        .address_space:  global
        .offset:         112
        .size:           8
        .value_kind:     global_buffer
      - .offset:         120
        .size:           4
        .value_kind:     by_value
      - .offset:         124
        .size:           1
        .value_kind:     by_value
    .group_segment_fixed_size: 2048
    .kernarg_segment_align: 8
    .kernarg_segment_size: 128
    .language:       OpenCL C
    .language_version:
      - 2
      - 0
    .max_flat_workgroup_size: 512
    .name:           _ZN9rocsparseL17sddmm_coox_kernelILi512ELi8ELb0EfllfffEEv20rocsparse_operation_S1_16rocsparse_order_S2_T4_S3_S3_T3_NS_24const_host_device_scalarIT2_EEPKT5_lPKT6_lS7_PT7_PKS4_SH_21rocsparse_index_base_b
    .private_segment_fixed_size: 0
    .sgpr_count:     22
    .sgpr_spill_count: 0
    .symbol:         _ZN9rocsparseL17sddmm_coox_kernelILi512ELi8ELb0EfllfffEEv20rocsparse_operation_S1_16rocsparse_order_S2_T4_S3_S3_T3_NS_24const_host_device_scalarIT2_EEPKT5_lPKT6_lS7_PT7_PKS4_SH_21rocsparse_index_base_b.kd
    .uniform_work_group_size: 1
    .uses_dynamic_stack: false
    .vgpr_count:     17
    .vgpr_spill_count: 0
    .wavefront_size: 32
    .workgroup_processor_mode: 1
  - .args:
      - .offset:         0
        .size:           4
        .value_kind:     by_value
      - .offset:         4
        .size:           4
        .value_kind:     by_value
      - .offset:         8
        .size:           4
        .value_kind:     by_value
      - .offset:         12
        .size:           4
        .value_kind:     by_value
      - .offset:         16
        .size:           8
        .value_kind:     by_value
      - .offset:         24
        .size:           8
        .value_kind:     by_value
      - .offset:         32
        .size:           8
        .value_kind:     by_value
      - .offset:         40
        .size:           8
        .value_kind:     by_value
      - .offset:         48
        .size:           8
        .value_kind:     by_value
      - .actual_access:  read_only
        .address_space:  global
        .offset:         56
        .size:           8
        .value_kind:     global_buffer
      - .offset:         64
        .size:           8
        .value_kind:     by_value
      - .actual_access:  read_only
        .address_space:  global
        .offset:         72
        .size:           8
        .value_kind:     global_buffer
      - .offset:         80
        .size:           8
        .value_kind:     by_value
      - .offset:         88
        .size:           8
        .value_kind:     by_value
      - .address_space:  global
        .offset:         96
        .size:           8
        .value_kind:     global_buffer
      - .actual_access:  read_only
        .address_space:  global
        .offset:         104
        .size:           8
        .value_kind:     global_buffer
      - .actual_access:  read_only
        .address_space:  global
        .offset:         112
        .size:           8
        .value_kind:     global_buffer
      - .offset:         120
        .size:           4
        .value_kind:     by_value
      - .offset:         124
        .size:           1
        .value_kind:     by_value
    .group_segment_fixed_size: 2048
    .kernarg_segment_align: 8
    .kernarg_segment_size: 128
    .language:       OpenCL C
    .language_version:
      - 2
      - 0
    .max_flat_workgroup_size: 512
    .name:           _ZN9rocsparseL17sddmm_coox_kernelILi512ELi4ELb0EfllfffEEv20rocsparse_operation_S1_16rocsparse_order_S2_T4_S3_S3_T3_NS_24const_host_device_scalarIT2_EEPKT5_lPKT6_lS7_PT7_PKS4_SH_21rocsparse_index_base_b
    .private_segment_fixed_size: 0
    .sgpr_count:     22
    .sgpr_spill_count: 0
    .symbol:         _ZN9rocsparseL17sddmm_coox_kernelILi512ELi4ELb0EfllfffEEv20rocsparse_operation_S1_16rocsparse_order_S2_T4_S3_S3_T3_NS_24const_host_device_scalarIT2_EEPKT5_lPKT6_lS7_PT7_PKS4_SH_21rocsparse_index_base_b.kd
    .uniform_work_group_size: 1
    .uses_dynamic_stack: false
    .vgpr_count:     17
    .vgpr_spill_count: 0
    .wavefront_size: 32
    .workgroup_processor_mode: 1
  - .args:
      - .offset:         0
        .size:           4
        .value_kind:     by_value
      - .offset:         4
        .size:           4
        .value_kind:     by_value
      - .offset:         8
        .size:           4
        .value_kind:     by_value
      - .offset:         12
        .size:           4
        .value_kind:     by_value
      - .offset:         16
        .size:           8
        .value_kind:     by_value
      - .offset:         24
        .size:           8
        .value_kind:     by_value
      - .offset:         32
        .size:           8
        .value_kind:     by_value
      - .offset:         40
        .size:           8
        .value_kind:     by_value
      - .offset:         48
        .size:           8
        .value_kind:     by_value
      - .actual_access:  read_only
        .address_space:  global
        .offset:         56
        .size:           8
        .value_kind:     global_buffer
      - .offset:         64
        .size:           8
        .value_kind:     by_value
      - .actual_access:  read_only
        .address_space:  global
        .offset:         72
        .size:           8
        .value_kind:     global_buffer
      - .offset:         80
        .size:           8
        .value_kind:     by_value
      - .offset:         88
        .size:           8
        .value_kind:     by_value
      - .address_space:  global
        .offset:         96
        .size:           8
        .value_kind:     global_buffer
      - .actual_access:  read_only
        .address_space:  global
        .offset:         104
        .size:           8
        .value_kind:     global_buffer
      - .actual_access:  read_only
        .address_space:  global
        .offset:         112
        .size:           8
        .value_kind:     global_buffer
      - .offset:         120
        .size:           4
        .value_kind:     by_value
      - .offset:         124
        .size:           1
        .value_kind:     by_value
    .group_segment_fixed_size: 2048
    .kernarg_segment_align: 8
    .kernarg_segment_size: 128
    .language:       OpenCL C
    .language_version:
      - 2
      - 0
    .max_flat_workgroup_size: 512
    .name:           _ZN9rocsparseL17sddmm_coox_kernelILi512ELi2ELb0EfllfffEEv20rocsparse_operation_S1_16rocsparse_order_S2_T4_S3_S3_T3_NS_24const_host_device_scalarIT2_EEPKT5_lPKT6_lS7_PT7_PKS4_SH_21rocsparse_index_base_b
    .private_segment_fixed_size: 0
    .sgpr_count:     22
    .sgpr_spill_count: 0
    .symbol:         _ZN9rocsparseL17sddmm_coox_kernelILi512ELi2ELb0EfllfffEEv20rocsparse_operation_S1_16rocsparse_order_S2_T4_S3_S3_T3_NS_24const_host_device_scalarIT2_EEPKT5_lPKT6_lS7_PT7_PKS4_SH_21rocsparse_index_base_b.kd
    .uniform_work_group_size: 1
    .uses_dynamic_stack: false
    .vgpr_count:     16
    .vgpr_spill_count: 0
    .wavefront_size: 32
    .workgroup_processor_mode: 1
  - .args:
      - .offset:         0
        .size:           4
        .value_kind:     by_value
      - .offset:         4
        .size:           4
        .value_kind:     by_value
      - .offset:         8
        .size:           4
        .value_kind:     by_value
      - .offset:         12
        .size:           4
        .value_kind:     by_value
      - .offset:         16
        .size:           8
        .value_kind:     by_value
      - .offset:         24
        .size:           8
        .value_kind:     by_value
      - .offset:         32
        .size:           8
        .value_kind:     by_value
      - .offset:         40
        .size:           8
        .value_kind:     by_value
      - .offset:         48
        .size:           8
        .value_kind:     by_value
      - .actual_access:  read_only
        .address_space:  global
        .offset:         56
        .size:           8
        .value_kind:     global_buffer
      - .offset:         64
        .size:           8
        .value_kind:     by_value
      - .actual_access:  read_only
        .address_space:  global
        .offset:         72
        .size:           8
        .value_kind:     global_buffer
      - .offset:         80
        .size:           8
        .value_kind:     by_value
      - .offset:         88
        .size:           8
        .value_kind:     by_value
      - .address_space:  global
        .offset:         96
        .size:           8
        .value_kind:     global_buffer
      - .actual_access:  read_only
        .address_space:  global
        .offset:         104
        .size:           8
        .value_kind:     global_buffer
      - .actual_access:  read_only
        .address_space:  global
        .offset:         112
        .size:           8
        .value_kind:     global_buffer
      - .offset:         120
        .size:           4
        .value_kind:     by_value
      - .offset:         124
        .size:           1
        .value_kind:     by_value
    .group_segment_fixed_size: 2048
    .kernarg_segment_align: 8
    .kernarg_segment_size: 128
    .language:       OpenCL C
    .language_version:
      - 2
      - 0
    .max_flat_workgroup_size: 512
    .name:           _ZN9rocsparseL17sddmm_coox_kernelILi512ELi1ELb0EfllfffEEv20rocsparse_operation_S1_16rocsparse_order_S2_T4_S3_S3_T3_NS_24const_host_device_scalarIT2_EEPKT5_lPKT6_lS7_PT7_PKS4_SH_21rocsparse_index_base_b
    .private_segment_fixed_size: 0
    .sgpr_count:     22
    .sgpr_spill_count: 0
    .symbol:         _ZN9rocsparseL17sddmm_coox_kernelILi512ELi1ELb0EfllfffEEv20rocsparse_operation_S1_16rocsparse_order_S2_T4_S3_S3_T3_NS_24const_host_device_scalarIT2_EEPKT5_lPKT6_lS7_PT7_PKS4_SH_21rocsparse_index_base_b.kd
    .uniform_work_group_size: 1
    .uses_dynamic_stack: false
    .vgpr_count:     11
    .vgpr_spill_count: 0
    .wavefront_size: 32
    .workgroup_processor_mode: 1
  - .args:
      - .offset:         0
        .size:           8
        .value_kind:     by_value
      - .offset:         8
        .size:           8
        .value_kind:     by_value
      - .offset:         16
        .size:           8
        .value_kind:     by_value
      - .actual_access:  read_only
        .address_space:  global
        .offset:         24
        .size:           8
        .value_kind:     global_buffer
      - .offset:         32
        .size:           8
        .value_kind:     by_value
      - .actual_access:  write_only
        .address_space:  global
        .offset:         40
        .size:           8
        .value_kind:     global_buffer
      - .actual_access:  read_only
        .address_space:  global
        .offset:         48
        .size:           8
        .value_kind:     global_buffer
      - .actual_access:  read_only
        .address_space:  global
        .offset:         56
        .size:           8
        .value_kind:     global_buffer
      - .offset:         64
        .size:           4
        .value_kind:     by_value
      - .offset:         72
        .size:           4
        .value_kind:     hidden_block_count_x
      - .offset:         76
        .size:           4
        .value_kind:     hidden_block_count_y
      - .offset:         80
        .size:           4
        .value_kind:     hidden_block_count_z
      - .offset:         84
        .size:           2
        .value_kind:     hidden_group_size_x
      - .offset:         86
        .size:           2
        .value_kind:     hidden_group_size_y
      - .offset:         88
        .size:           2
        .value_kind:     hidden_group_size_z
      - .offset:         90
        .size:           2
        .value_kind:     hidden_remainder_x
      - .offset:         92
        .size:           2
        .value_kind:     hidden_remainder_y
      - .offset:         94
        .size:           2
        .value_kind:     hidden_remainder_z
      - .offset:         112
        .size:           8
        .value_kind:     hidden_global_offset_x
      - .offset:         120
        .size:           8
        .value_kind:     hidden_global_offset_y
      - .offset:         128
        .size:           8
        .value_kind:     hidden_global_offset_z
      - .offset:         136
        .size:           2
        .value_kind:     hidden_grid_dims
    .group_segment_fixed_size: 0
    .kernarg_segment_align: 8
    .kernarg_segment_size: 328
    .language:       OpenCL C
    .language_version:
      - 2
      - 0
    .max_flat_workgroup_size: 512
    .name:           _ZN9rocsparseL24sddmm_coox_sample_kernelILi512ELb0EdlldEEvT3_S1_T2_PKT4_S1_PS3_PKS2_S8_21rocsparse_index_base_
    .private_segment_fixed_size: 0
    .sgpr_count:     18
    .sgpr_spill_count: 0
    .symbol:         _ZN9rocsparseL24sddmm_coox_sample_kernelILi512ELb0EdlldEEvT3_S1_T2_PKT4_S1_PS3_PKS2_S8_21rocsparse_index_base_.kd
    .uniform_work_group_size: 1
    .uses_dynamic_stack: false
    .vgpr_count:     10
    .vgpr_spill_count: 0
    .wavefront_size: 32
    .workgroup_processor_mode: 1
  - .args:
      - .offset:         0
        .size:           4
        .value_kind:     by_value
      - .offset:         4
        .size:           4
        .value_kind:     by_value
      - .offset:         8
        .size:           4
        .value_kind:     by_value
      - .offset:         12
        .size:           4
        .value_kind:     by_value
      - .offset:         16
        .size:           8
        .value_kind:     by_value
      - .offset:         24
        .size:           8
        .value_kind:     by_value
      - .offset:         32
        .size:           8
        .value_kind:     by_value
      - .offset:         40
        .size:           8
        .value_kind:     by_value
      - .offset:         48
        .size:           8
        .value_kind:     by_value
      - .actual_access:  read_only
        .address_space:  global
        .offset:         56
        .size:           8
        .value_kind:     global_buffer
      - .offset:         64
        .size:           8
        .value_kind:     by_value
      - .actual_access:  read_only
        .address_space:  global
        .offset:         72
        .size:           8
        .value_kind:     global_buffer
      - .offset:         80
        .size:           8
        .value_kind:     by_value
      - .offset:         88
        .size:           8
        .value_kind:     by_value
      - .address_space:  global
        .offset:         96
        .size:           8
        .value_kind:     global_buffer
      - .actual_access:  read_only
        .address_space:  global
        .offset:         104
        .size:           8
        .value_kind:     global_buffer
      - .actual_access:  read_only
        .address_space:  global
        .offset:         112
        .size:           8
        .value_kind:     global_buffer
      - .offset:         120
        .size:           4
        .value_kind:     by_value
      - .offset:         124
        .size:           1
        .value_kind:     by_value
    .group_segment_fixed_size: 4096
    .kernarg_segment_align: 8
    .kernarg_segment_size: 128
    .language:       OpenCL C
    .language_version:
      - 2
      - 0
    .max_flat_workgroup_size: 512
    .name:           _ZN9rocsparseL17sddmm_coox_kernelILi512ELi8ELb0EdlldddEEv20rocsparse_operation_S1_16rocsparse_order_S2_T4_S3_S3_T3_NS_24const_host_device_scalarIT2_EEPKT5_lPKT6_lS7_PT7_PKS4_SH_21rocsparse_index_base_b
    .private_segment_fixed_size: 0
    .sgpr_count:     20
    .sgpr_spill_count: 0
    .symbol:         _ZN9rocsparseL17sddmm_coox_kernelILi512ELi8ELb0EdlldddEEv20rocsparse_operation_S1_16rocsparse_order_S2_T4_S3_S3_T3_NS_24const_host_device_scalarIT2_EEPKT5_lPKT6_lS7_PT7_PKS4_SH_21rocsparse_index_base_b.kd
    .uniform_work_group_size: 1
    .uses_dynamic_stack: false
    .vgpr_count:     22
    .vgpr_spill_count: 0
    .wavefront_size: 32
    .workgroup_processor_mode: 1
  - .args:
      - .offset:         0
        .size:           4
        .value_kind:     by_value
      - .offset:         4
        .size:           4
        .value_kind:     by_value
      - .offset:         8
        .size:           4
        .value_kind:     by_value
      - .offset:         12
        .size:           4
        .value_kind:     by_value
      - .offset:         16
        .size:           8
        .value_kind:     by_value
      - .offset:         24
        .size:           8
        .value_kind:     by_value
      - .offset:         32
        .size:           8
        .value_kind:     by_value
      - .offset:         40
        .size:           8
        .value_kind:     by_value
      - .offset:         48
        .size:           8
        .value_kind:     by_value
      - .actual_access:  read_only
        .address_space:  global
        .offset:         56
        .size:           8
        .value_kind:     global_buffer
      - .offset:         64
        .size:           8
        .value_kind:     by_value
      - .actual_access:  read_only
        .address_space:  global
        .offset:         72
        .size:           8
        .value_kind:     global_buffer
      - .offset:         80
        .size:           8
        .value_kind:     by_value
      - .offset:         88
        .size:           8
        .value_kind:     by_value
      - .address_space:  global
        .offset:         96
        .size:           8
        .value_kind:     global_buffer
      - .actual_access:  read_only
        .address_space:  global
        .offset:         104
        .size:           8
        .value_kind:     global_buffer
      - .actual_access:  read_only
        .address_space:  global
        .offset:         112
        .size:           8
        .value_kind:     global_buffer
      - .offset:         120
        .size:           4
        .value_kind:     by_value
      - .offset:         124
        .size:           1
        .value_kind:     by_value
    .group_segment_fixed_size: 4096
    .kernarg_segment_align: 8
    .kernarg_segment_size: 128
    .language:       OpenCL C
    .language_version:
      - 2
      - 0
    .max_flat_workgroup_size: 512
    .name:           _ZN9rocsparseL17sddmm_coox_kernelILi512ELi4ELb0EdlldddEEv20rocsparse_operation_S1_16rocsparse_order_S2_T4_S3_S3_T3_NS_24const_host_device_scalarIT2_EEPKT5_lPKT6_lS7_PT7_PKS4_SH_21rocsparse_index_base_b
    .private_segment_fixed_size: 0
    .sgpr_count:     20
    .sgpr_spill_count: 0
    .symbol:         _ZN9rocsparseL17sddmm_coox_kernelILi512ELi4ELb0EdlldddEEv20rocsparse_operation_S1_16rocsparse_order_S2_T4_S3_S3_T3_NS_24const_host_device_scalarIT2_EEPKT5_lPKT6_lS7_PT7_PKS4_SH_21rocsparse_index_base_b.kd
    .uniform_work_group_size: 1
    .uses_dynamic_stack: false
    .vgpr_count:     22
    .vgpr_spill_count: 0
    .wavefront_size: 32
    .workgroup_processor_mode: 1
  - .args:
      - .offset:         0
        .size:           4
        .value_kind:     by_value
      - .offset:         4
        .size:           4
        .value_kind:     by_value
      - .offset:         8
        .size:           4
        .value_kind:     by_value
      - .offset:         12
        .size:           4
        .value_kind:     by_value
      - .offset:         16
        .size:           8
        .value_kind:     by_value
      - .offset:         24
        .size:           8
        .value_kind:     by_value
      - .offset:         32
        .size:           8
        .value_kind:     by_value
      - .offset:         40
        .size:           8
        .value_kind:     by_value
      - .offset:         48
        .size:           8
        .value_kind:     by_value
      - .actual_access:  read_only
        .address_space:  global
        .offset:         56
        .size:           8
        .value_kind:     global_buffer
      - .offset:         64
        .size:           8
        .value_kind:     by_value
      - .actual_access:  read_only
        .address_space:  global
        .offset:         72
        .size:           8
        .value_kind:     global_buffer
      - .offset:         80
        .size:           8
        .value_kind:     by_value
      - .offset:         88
        .size:           8
        .value_kind:     by_value
      - .address_space:  global
        .offset:         96
        .size:           8
        .value_kind:     global_buffer
      - .actual_access:  read_only
        .address_space:  global
        .offset:         104
        .size:           8
        .value_kind:     global_buffer
      - .actual_access:  read_only
        .address_space:  global
        .offset:         112
        .size:           8
        .value_kind:     global_buffer
      - .offset:         120
        .size:           4
        .value_kind:     by_value
      - .offset:         124
        .size:           1
        .value_kind:     by_value
    .group_segment_fixed_size: 4096
    .kernarg_segment_align: 8
    .kernarg_segment_size: 128
    .language:       OpenCL C
    .language_version:
      - 2
      - 0
    .max_flat_workgroup_size: 512
    .name:           _ZN9rocsparseL17sddmm_coox_kernelILi512ELi2ELb0EdlldddEEv20rocsparse_operation_S1_16rocsparse_order_S2_T4_S3_S3_T3_NS_24const_host_device_scalarIT2_EEPKT5_lPKT6_lS7_PT7_PKS4_SH_21rocsparse_index_base_b
    .private_segment_fixed_size: 0
    .sgpr_count:     20
    .sgpr_spill_count: 0
    .symbol:         _ZN9rocsparseL17sddmm_coox_kernelILi512ELi2ELb0EdlldddEEv20rocsparse_operation_S1_16rocsparse_order_S2_T4_S3_S3_T3_NS_24const_host_device_scalarIT2_EEPKT5_lPKT6_lS7_PT7_PKS4_SH_21rocsparse_index_base_b.kd
    .uniform_work_group_size: 1
    .uses_dynamic_stack: false
    .vgpr_count:     22
    .vgpr_spill_count: 0
    .wavefront_size: 32
    .workgroup_processor_mode: 1
  - .args:
      - .offset:         0
        .size:           4
        .value_kind:     by_value
      - .offset:         4
        .size:           4
        .value_kind:     by_value
      - .offset:         8
        .size:           4
        .value_kind:     by_value
      - .offset:         12
        .size:           4
        .value_kind:     by_value
      - .offset:         16
        .size:           8
        .value_kind:     by_value
      - .offset:         24
        .size:           8
        .value_kind:     by_value
      - .offset:         32
        .size:           8
        .value_kind:     by_value
      - .offset:         40
        .size:           8
        .value_kind:     by_value
      - .offset:         48
        .size:           8
        .value_kind:     by_value
      - .actual_access:  read_only
        .address_space:  global
        .offset:         56
        .size:           8
        .value_kind:     global_buffer
      - .offset:         64
        .size:           8
        .value_kind:     by_value
      - .actual_access:  read_only
        .address_space:  global
        .offset:         72
        .size:           8
        .value_kind:     global_buffer
      - .offset:         80
        .size:           8
        .value_kind:     by_value
      - .offset:         88
        .size:           8
        .value_kind:     by_value
      - .address_space:  global
        .offset:         96
        .size:           8
        .value_kind:     global_buffer
      - .actual_access:  read_only
        .address_space:  global
        .offset:         104
        .size:           8
        .value_kind:     global_buffer
      - .actual_access:  read_only
        .address_space:  global
        .offset:         112
        .size:           8
        .value_kind:     global_buffer
      - .offset:         120
        .size:           4
        .value_kind:     by_value
      - .offset:         124
        .size:           1
        .value_kind:     by_value
    .group_segment_fixed_size: 4096
    .kernarg_segment_align: 8
    .kernarg_segment_size: 128
    .language:       OpenCL C
    .language_version:
      - 2
      - 0
    .max_flat_workgroup_size: 512
    .name:           _ZN9rocsparseL17sddmm_coox_kernelILi512ELi1ELb0EdlldddEEv20rocsparse_operation_S1_16rocsparse_order_S2_T4_S3_S3_T3_NS_24const_host_device_scalarIT2_EEPKT5_lPKT6_lS7_PT7_PKS4_SH_21rocsparse_index_base_b
    .private_segment_fixed_size: 0
    .sgpr_count:     20
    .sgpr_spill_count: 0
    .symbol:         _ZN9rocsparseL17sddmm_coox_kernelILi512ELi1ELb0EdlldddEEv20rocsparse_operation_S1_16rocsparse_order_S2_T4_S3_S3_T3_NS_24const_host_device_scalarIT2_EEPKT5_lPKT6_lS7_PT7_PKS4_SH_21rocsparse_index_base_b.kd
    .uniform_work_group_size: 1
    .uses_dynamic_stack: false
    .vgpr_count:     17
    .vgpr_spill_count: 0
    .wavefront_size: 32
    .workgroup_processor_mode: 1
  - .args:
      - .offset:         0
        .size:           8
        .value_kind:     by_value
      - .offset:         8
        .size:           8
        .value_kind:     by_value
      - .offset:         16
        .size:           8
        .value_kind:     by_value
      - .actual_access:  read_only
        .address_space:  global
        .offset:         24
        .size:           8
        .value_kind:     global_buffer
      - .offset:         32
        .size:           8
        .value_kind:     by_value
      - .actual_access:  write_only
        .address_space:  global
        .offset:         40
        .size:           8
        .value_kind:     global_buffer
      - .actual_access:  read_only
        .address_space:  global
        .offset:         48
        .size:           8
        .value_kind:     global_buffer
      - .actual_access:  read_only
        .address_space:  global
        .offset:         56
        .size:           8
        .value_kind:     global_buffer
      - .offset:         64
        .size:           4
        .value_kind:     by_value
      - .offset:         72
        .size:           4
        .value_kind:     hidden_block_count_x
      - .offset:         76
        .size:           4
        .value_kind:     hidden_block_count_y
      - .offset:         80
        .size:           4
        .value_kind:     hidden_block_count_z
      - .offset:         84
        .size:           2
        .value_kind:     hidden_group_size_x
      - .offset:         86
        .size:           2
        .value_kind:     hidden_group_size_y
      - .offset:         88
        .size:           2
        .value_kind:     hidden_group_size_z
      - .offset:         90
        .size:           2
        .value_kind:     hidden_remainder_x
      - .offset:         92
        .size:           2
        .value_kind:     hidden_remainder_y
      - .offset:         94
        .size:           2
        .value_kind:     hidden_remainder_z
      - .offset:         112
        .size:           8
        .value_kind:     hidden_global_offset_x
      - .offset:         120
        .size:           8
        .value_kind:     hidden_global_offset_y
      - .offset:         128
        .size:           8
        .value_kind:     hidden_global_offset_z
      - .offset:         136
        .size:           2
        .value_kind:     hidden_grid_dims
    .group_segment_fixed_size: 0
    .kernarg_segment_align: 8
    .kernarg_segment_size: 328
    .language:       OpenCL C
    .language_version:
      - 2
      - 0
    .max_flat_workgroup_size: 512
    .name:           _ZN9rocsparseL24sddmm_coox_sample_kernelILi512ELb0E21rocsparse_complex_numIfEllS2_EEvT3_S3_T2_PKT4_S3_PS5_PKS4_SA_21rocsparse_index_base_
    .private_segment_fixed_size: 0
    .sgpr_count:     18
    .sgpr_spill_count: 0
    .symbol:         _ZN9rocsparseL24sddmm_coox_sample_kernelILi512ELb0E21rocsparse_complex_numIfEllS2_EEvT3_S3_T2_PKT4_S3_PS5_PKS4_SA_21rocsparse_index_base_.kd
    .uniform_work_group_size: 1
    .uses_dynamic_stack: false
    .vgpr_count:     10
    .vgpr_spill_count: 0
    .wavefront_size: 32
    .workgroup_processor_mode: 1
  - .args:
      - .offset:         0
        .size:           4
        .value_kind:     by_value
      - .offset:         4
        .size:           4
        .value_kind:     by_value
      - .offset:         8
        .size:           4
        .value_kind:     by_value
      - .offset:         12
        .size:           4
        .value_kind:     by_value
      - .offset:         16
        .size:           8
        .value_kind:     by_value
      - .offset:         24
        .size:           8
        .value_kind:     by_value
      - .offset:         32
        .size:           8
        .value_kind:     by_value
      - .offset:         40
        .size:           8
        .value_kind:     by_value
      - .offset:         48
        .size:           8
        .value_kind:     by_value
      - .actual_access:  read_only
        .address_space:  global
        .offset:         56
        .size:           8
        .value_kind:     global_buffer
      - .offset:         64
        .size:           8
        .value_kind:     by_value
      - .actual_access:  read_only
        .address_space:  global
        .offset:         72
        .size:           8
        .value_kind:     global_buffer
      - .offset:         80
        .size:           8
        .value_kind:     by_value
      - .offset:         88
        .size:           8
        .value_kind:     by_value
      - .address_space:  global
        .offset:         96
        .size:           8
        .value_kind:     global_buffer
      - .actual_access:  read_only
        .address_space:  global
        .offset:         104
        .size:           8
        .value_kind:     global_buffer
      - .actual_access:  read_only
        .address_space:  global
        .offset:         112
        .size:           8
        .value_kind:     global_buffer
      - .offset:         120
        .size:           4
        .value_kind:     by_value
      - .offset:         124
        .size:           1
        .value_kind:     by_value
    .group_segment_fixed_size: 4096
    .kernarg_segment_align: 8
    .kernarg_segment_size: 128
    .language:       OpenCL C
    .language_version:
      - 2
      - 0
    .max_flat_workgroup_size: 512
    .name:           _ZN9rocsparseL17sddmm_coox_kernelILi512ELi8ELb0E21rocsparse_complex_numIfEllS2_S2_S2_EEv20rocsparse_operation_S3_16rocsparse_order_S4_T4_S5_S5_T3_NS_24const_host_device_scalarIT2_EEPKT5_lPKT6_lS9_PT7_PKS6_SJ_21rocsparse_index_base_b
    .private_segment_fixed_size: 0
    .sgpr_count:     20
    .sgpr_spill_count: 0
    .symbol:         _ZN9rocsparseL17sddmm_coox_kernelILi512ELi8ELb0E21rocsparse_complex_numIfEllS2_S2_S2_EEv20rocsparse_operation_S3_16rocsparse_order_S4_T4_S5_S5_T3_NS_24const_host_device_scalarIT2_EEPKT5_lPKT6_lS9_PT7_PKS6_SJ_21rocsparse_index_base_b.kd
    .uniform_work_group_size: 1
    .uses_dynamic_stack: false
    .vgpr_count:     21
    .vgpr_spill_count: 0
    .wavefront_size: 32
    .workgroup_processor_mode: 1
  - .args:
      - .offset:         0
        .size:           4
        .value_kind:     by_value
      - .offset:         4
        .size:           4
        .value_kind:     by_value
      - .offset:         8
        .size:           4
        .value_kind:     by_value
      - .offset:         12
        .size:           4
        .value_kind:     by_value
      - .offset:         16
        .size:           8
        .value_kind:     by_value
      - .offset:         24
        .size:           8
        .value_kind:     by_value
      - .offset:         32
        .size:           8
        .value_kind:     by_value
      - .offset:         40
        .size:           8
        .value_kind:     by_value
      - .offset:         48
        .size:           8
        .value_kind:     by_value
      - .actual_access:  read_only
        .address_space:  global
        .offset:         56
        .size:           8
        .value_kind:     global_buffer
      - .offset:         64
        .size:           8
        .value_kind:     by_value
      - .actual_access:  read_only
        .address_space:  global
        .offset:         72
        .size:           8
        .value_kind:     global_buffer
      - .offset:         80
        .size:           8
        .value_kind:     by_value
      - .offset:         88
        .size:           8
        .value_kind:     by_value
      - .address_space:  global
        .offset:         96
        .size:           8
        .value_kind:     global_buffer
      - .actual_access:  read_only
        .address_space:  global
        .offset:         104
        .size:           8
        .value_kind:     global_buffer
      - .actual_access:  read_only
        .address_space:  global
        .offset:         112
        .size:           8
        .value_kind:     global_buffer
      - .offset:         120
        .size:           4
        .value_kind:     by_value
      - .offset:         124
        .size:           1
        .value_kind:     by_value
    .group_segment_fixed_size: 4096
    .kernarg_segment_align: 8
    .kernarg_segment_size: 128
    .language:       OpenCL C
    .language_version:
      - 2
      - 0
    .max_flat_workgroup_size: 512
    .name:           _ZN9rocsparseL17sddmm_coox_kernelILi512ELi4ELb0E21rocsparse_complex_numIfEllS2_S2_S2_EEv20rocsparse_operation_S3_16rocsparse_order_S4_T4_S5_S5_T3_NS_24const_host_device_scalarIT2_EEPKT5_lPKT6_lS9_PT7_PKS6_SJ_21rocsparse_index_base_b
    .private_segment_fixed_size: 0
    .sgpr_count:     20
    .sgpr_spill_count: 0
    .symbol:         _ZN9rocsparseL17sddmm_coox_kernelILi512ELi4ELb0E21rocsparse_complex_numIfEllS2_S2_S2_EEv20rocsparse_operation_S3_16rocsparse_order_S4_T4_S5_S5_T3_NS_24const_host_device_scalarIT2_EEPKT5_lPKT6_lS9_PT7_PKS6_SJ_21rocsparse_index_base_b.kd
    .uniform_work_group_size: 1
    .uses_dynamic_stack: false
    .vgpr_count:     21
    .vgpr_spill_count: 0
    .wavefront_size: 32
    .workgroup_processor_mode: 1
  - .args:
      - .offset:         0
        .size:           4
        .value_kind:     by_value
      - .offset:         4
        .size:           4
        .value_kind:     by_value
      - .offset:         8
        .size:           4
        .value_kind:     by_value
      - .offset:         12
        .size:           4
        .value_kind:     by_value
      - .offset:         16
        .size:           8
        .value_kind:     by_value
      - .offset:         24
        .size:           8
        .value_kind:     by_value
      - .offset:         32
        .size:           8
        .value_kind:     by_value
      - .offset:         40
        .size:           8
        .value_kind:     by_value
      - .offset:         48
        .size:           8
        .value_kind:     by_value
      - .actual_access:  read_only
        .address_space:  global
        .offset:         56
        .size:           8
        .value_kind:     global_buffer
      - .offset:         64
        .size:           8
        .value_kind:     by_value
      - .actual_access:  read_only
        .address_space:  global
        .offset:         72
        .size:           8
        .value_kind:     global_buffer
      - .offset:         80
        .size:           8
        .value_kind:     by_value
      - .offset:         88
        .size:           8
        .value_kind:     by_value
      - .address_space:  global
        .offset:         96
        .size:           8
        .value_kind:     global_buffer
      - .actual_access:  read_only
        .address_space:  global
        .offset:         104
        .size:           8
        .value_kind:     global_buffer
      - .actual_access:  read_only
        .address_space:  global
        .offset:         112
        .size:           8
        .value_kind:     global_buffer
      - .offset:         120
        .size:           4
        .value_kind:     by_value
      - .offset:         124
        .size:           1
        .value_kind:     by_value
    .group_segment_fixed_size: 4096
    .kernarg_segment_align: 8
    .kernarg_segment_size: 128
    .language:       OpenCL C
    .language_version:
      - 2
      - 0
    .max_flat_workgroup_size: 512
    .name:           _ZN9rocsparseL17sddmm_coox_kernelILi512ELi2ELb0E21rocsparse_complex_numIfEllS2_S2_S2_EEv20rocsparse_operation_S3_16rocsparse_order_S4_T4_S5_S5_T3_NS_24const_host_device_scalarIT2_EEPKT5_lPKT6_lS9_PT7_PKS6_SJ_21rocsparse_index_base_b
    .private_segment_fixed_size: 0
    .sgpr_count:     20
    .sgpr_spill_count: 0
    .symbol:         _ZN9rocsparseL17sddmm_coox_kernelILi512ELi2ELb0E21rocsparse_complex_numIfEllS2_S2_S2_EEv20rocsparse_operation_S3_16rocsparse_order_S4_T4_S5_S5_T3_NS_24const_host_device_scalarIT2_EEPKT5_lPKT6_lS9_PT7_PKS6_SJ_21rocsparse_index_base_b.kd
    .uniform_work_group_size: 1
    .uses_dynamic_stack: false
    .vgpr_count:     21
    .vgpr_spill_count: 0
    .wavefront_size: 32
    .workgroup_processor_mode: 1
  - .args:
      - .offset:         0
        .size:           4
        .value_kind:     by_value
      - .offset:         4
        .size:           4
        .value_kind:     by_value
      - .offset:         8
        .size:           4
        .value_kind:     by_value
      - .offset:         12
        .size:           4
        .value_kind:     by_value
      - .offset:         16
        .size:           8
        .value_kind:     by_value
      - .offset:         24
        .size:           8
        .value_kind:     by_value
      - .offset:         32
        .size:           8
        .value_kind:     by_value
      - .offset:         40
        .size:           8
        .value_kind:     by_value
      - .offset:         48
        .size:           8
        .value_kind:     by_value
      - .actual_access:  read_only
        .address_space:  global
        .offset:         56
        .size:           8
        .value_kind:     global_buffer
      - .offset:         64
        .size:           8
        .value_kind:     by_value
      - .actual_access:  read_only
        .address_space:  global
        .offset:         72
        .size:           8
        .value_kind:     global_buffer
      - .offset:         80
        .size:           8
        .value_kind:     by_value
      - .offset:         88
        .size:           8
        .value_kind:     by_value
      - .address_space:  global
        .offset:         96
        .size:           8
        .value_kind:     global_buffer
      - .actual_access:  read_only
        .address_space:  global
        .offset:         104
        .size:           8
        .value_kind:     global_buffer
      - .actual_access:  read_only
        .address_space:  global
        .offset:         112
        .size:           8
        .value_kind:     global_buffer
      - .offset:         120
        .size:           4
        .value_kind:     by_value
      - .offset:         124
        .size:           1
        .value_kind:     by_value
    .group_segment_fixed_size: 4096
    .kernarg_segment_align: 8
    .kernarg_segment_size: 128
    .language:       OpenCL C
    .language_version:
      - 2
      - 0
    .max_flat_workgroup_size: 512
    .name:           _ZN9rocsparseL17sddmm_coox_kernelILi512ELi1ELb0E21rocsparse_complex_numIfEllS2_S2_S2_EEv20rocsparse_operation_S3_16rocsparse_order_S4_T4_S5_S5_T3_NS_24const_host_device_scalarIT2_EEPKT5_lPKT6_lS9_PT7_PKS6_SJ_21rocsparse_index_base_b
    .private_segment_fixed_size: 0
    .sgpr_count:     20
    .sgpr_spill_count: 0
    .symbol:         _ZN9rocsparseL17sddmm_coox_kernelILi512ELi1ELb0E21rocsparse_complex_numIfEllS2_S2_S2_EEv20rocsparse_operation_S3_16rocsparse_order_S4_T4_S5_S5_T3_NS_24const_host_device_scalarIT2_EEPKT5_lPKT6_lS9_PT7_PKS6_SJ_21rocsparse_index_base_b.kd
    .uniform_work_group_size: 1
    .uses_dynamic_stack: false
    .vgpr_count:     18
    .vgpr_spill_count: 0
    .wavefront_size: 32
    .workgroup_processor_mode: 1
  - .args:
      - .offset:         0
        .size:           8
        .value_kind:     by_value
      - .offset:         8
        .size:           8
        .value_kind:     by_value
      - .offset:         16
        .size:           8
        .value_kind:     by_value
      - .actual_access:  read_only
        .address_space:  global
        .offset:         24
        .size:           8
        .value_kind:     global_buffer
      - .offset:         32
        .size:           8
        .value_kind:     by_value
      - .actual_access:  write_only
        .address_space:  global
        .offset:         40
        .size:           8
        .value_kind:     global_buffer
      - .actual_access:  read_only
        .address_space:  global
        .offset:         48
        .size:           8
        .value_kind:     global_buffer
      - .actual_access:  read_only
        .address_space:  global
        .offset:         56
        .size:           8
        .value_kind:     global_buffer
      - .offset:         64
        .size:           4
        .value_kind:     by_value
      - .offset:         72
        .size:           4
        .value_kind:     hidden_block_count_x
      - .offset:         76
        .size:           4
        .value_kind:     hidden_block_count_y
      - .offset:         80
        .size:           4
        .value_kind:     hidden_block_count_z
      - .offset:         84
        .size:           2
        .value_kind:     hidden_group_size_x
      - .offset:         86
        .size:           2
        .value_kind:     hidden_group_size_y
      - .offset:         88
        .size:           2
        .value_kind:     hidden_group_size_z
      - .offset:         90
        .size:           2
        .value_kind:     hidden_remainder_x
      - .offset:         92
        .size:           2
        .value_kind:     hidden_remainder_y
      - .offset:         94
        .size:           2
        .value_kind:     hidden_remainder_z
      - .offset:         112
        .size:           8
        .value_kind:     hidden_global_offset_x
      - .offset:         120
        .size:           8
        .value_kind:     hidden_global_offset_y
      - .offset:         128
        .size:           8
        .value_kind:     hidden_global_offset_z
      - .offset:         136
        .size:           2
        .value_kind:     hidden_grid_dims
    .group_segment_fixed_size: 0
    .kernarg_segment_align: 8
    .kernarg_segment_size: 328
    .language:       OpenCL C
    .language_version:
      - 2
      - 0
    .max_flat_workgroup_size: 512
    .name:           _ZN9rocsparseL24sddmm_coox_sample_kernelILi512ELb0E21rocsparse_complex_numIdEllS2_EEvT3_S3_T2_PKT4_S3_PS5_PKS4_SA_21rocsparse_index_base_
    .private_segment_fixed_size: 0
    .sgpr_count:     18
    .sgpr_spill_count: 0
    .symbol:         _ZN9rocsparseL24sddmm_coox_sample_kernelILi512ELb0E21rocsparse_complex_numIdEllS2_EEvT3_S3_T2_PKT4_S3_PS5_PKS4_SA_21rocsparse_index_base_.kd
    .uniform_work_group_size: 1
    .uses_dynamic_stack: false
    .vgpr_count:     10
    .vgpr_spill_count: 0
    .wavefront_size: 32
    .workgroup_processor_mode: 1
  - .args:
      - .offset:         0
        .size:           4
        .value_kind:     by_value
      - .offset:         4
        .size:           4
        .value_kind:     by_value
      - .offset:         8
        .size:           4
        .value_kind:     by_value
      - .offset:         12
        .size:           4
        .value_kind:     by_value
      - .offset:         16
        .size:           8
        .value_kind:     by_value
      - .offset:         24
        .size:           8
        .value_kind:     by_value
      - .offset:         32
        .size:           8
        .value_kind:     by_value
      - .offset:         40
        .size:           8
        .value_kind:     by_value
      - .offset:         48
        .size:           16
        .value_kind:     by_value
      - .actual_access:  read_only
        .address_space:  global
        .offset:         64
        .size:           8
        .value_kind:     global_buffer
      - .offset:         72
        .size:           8
        .value_kind:     by_value
      - .actual_access:  read_only
        .address_space:  global
        .offset:         80
        .size:           8
        .value_kind:     global_buffer
      - .offset:         88
        .size:           8
        .value_kind:     by_value
      - .offset:         96
        .size:           16
        .value_kind:     by_value
      - .address_space:  global
        .offset:         112
        .size:           8
        .value_kind:     global_buffer
      - .actual_access:  read_only
        .address_space:  global
        .offset:         120
        .size:           8
        .value_kind:     global_buffer
      - .actual_access:  read_only
        .address_space:  global
        .offset:         128
        .size:           8
        .value_kind:     global_buffer
      - .offset:         136
        .size:           4
        .value_kind:     by_value
      - .offset:         140
        .size:           1
        .value_kind:     by_value
    .group_segment_fixed_size: 8192
    .kernarg_segment_align: 8
    .kernarg_segment_size: 144
    .language:       OpenCL C
    .language_version:
      - 2
      - 0
    .max_flat_workgroup_size: 512
    .name:           _ZN9rocsparseL17sddmm_coox_kernelILi512ELi8ELb0E21rocsparse_complex_numIdEllS2_S2_S2_EEv20rocsparse_operation_S3_16rocsparse_order_S4_T4_S5_S5_T3_NS_24const_host_device_scalarIT2_EEPKT5_lPKT6_lS9_PT7_PKS6_SJ_21rocsparse_index_base_b
    .private_segment_fixed_size: 0
    .sgpr_count:     20
    .sgpr_spill_count: 0
    .symbol:         _ZN9rocsparseL17sddmm_coox_kernelILi512ELi8ELb0E21rocsparse_complex_numIdEllS2_S2_S2_EEv20rocsparse_operation_S3_16rocsparse_order_S4_T4_S5_S5_T3_NS_24const_host_device_scalarIT2_EEPKT5_lPKT6_lS9_PT7_PKS6_SJ_21rocsparse_index_base_b.kd
    .uniform_work_group_size: 1
    .uses_dynamic_stack: false
    .vgpr_count:     34
    .vgpr_spill_count: 0
    .wavefront_size: 32
    .workgroup_processor_mode: 1
  - .args:
      - .offset:         0
        .size:           4
        .value_kind:     by_value
      - .offset:         4
        .size:           4
        .value_kind:     by_value
      - .offset:         8
        .size:           4
        .value_kind:     by_value
      - .offset:         12
        .size:           4
        .value_kind:     by_value
      - .offset:         16
        .size:           8
        .value_kind:     by_value
      - .offset:         24
        .size:           8
        .value_kind:     by_value
      - .offset:         32
        .size:           8
        .value_kind:     by_value
      - .offset:         40
        .size:           8
        .value_kind:     by_value
      - .offset:         48
        .size:           16
        .value_kind:     by_value
      - .actual_access:  read_only
        .address_space:  global
        .offset:         64
        .size:           8
        .value_kind:     global_buffer
      - .offset:         72
        .size:           8
        .value_kind:     by_value
      - .actual_access:  read_only
        .address_space:  global
        .offset:         80
        .size:           8
        .value_kind:     global_buffer
      - .offset:         88
        .size:           8
        .value_kind:     by_value
      - .offset:         96
        .size:           16
        .value_kind:     by_value
      - .address_space:  global
        .offset:         112
        .size:           8
        .value_kind:     global_buffer
      - .actual_access:  read_only
        .address_space:  global
        .offset:         120
        .size:           8
        .value_kind:     global_buffer
      - .actual_access:  read_only
        .address_space:  global
        .offset:         128
        .size:           8
        .value_kind:     global_buffer
      - .offset:         136
        .size:           4
        .value_kind:     by_value
      - .offset:         140
        .size:           1
        .value_kind:     by_value
    .group_segment_fixed_size: 8192
    .kernarg_segment_align: 8
    .kernarg_segment_size: 144
    .language:       OpenCL C
    .language_version:
      - 2
      - 0
    .max_flat_workgroup_size: 512
    .name:           _ZN9rocsparseL17sddmm_coox_kernelILi512ELi4ELb0E21rocsparse_complex_numIdEllS2_S2_S2_EEv20rocsparse_operation_S3_16rocsparse_order_S4_T4_S5_S5_T3_NS_24const_host_device_scalarIT2_EEPKT5_lPKT6_lS9_PT7_PKS6_SJ_21rocsparse_index_base_b
    .private_segment_fixed_size: 0
    .sgpr_count:     20
    .sgpr_spill_count: 0
    .symbol:         _ZN9rocsparseL17sddmm_coox_kernelILi512ELi4ELb0E21rocsparse_complex_numIdEllS2_S2_S2_EEv20rocsparse_operation_S3_16rocsparse_order_S4_T4_S5_S5_T3_NS_24const_host_device_scalarIT2_EEPKT5_lPKT6_lS9_PT7_PKS6_SJ_21rocsparse_index_base_b.kd
    .uniform_work_group_size: 1
    .uses_dynamic_stack: false
    .vgpr_count:     34
    .vgpr_spill_count: 0
    .wavefront_size: 32
    .workgroup_processor_mode: 1
  - .args:
      - .offset:         0
        .size:           4
        .value_kind:     by_value
      - .offset:         4
        .size:           4
        .value_kind:     by_value
      - .offset:         8
        .size:           4
        .value_kind:     by_value
      - .offset:         12
        .size:           4
        .value_kind:     by_value
      - .offset:         16
        .size:           8
        .value_kind:     by_value
      - .offset:         24
        .size:           8
        .value_kind:     by_value
      - .offset:         32
        .size:           8
        .value_kind:     by_value
      - .offset:         40
        .size:           8
        .value_kind:     by_value
      - .offset:         48
        .size:           16
        .value_kind:     by_value
      - .actual_access:  read_only
        .address_space:  global
        .offset:         64
        .size:           8
        .value_kind:     global_buffer
      - .offset:         72
        .size:           8
        .value_kind:     by_value
      - .actual_access:  read_only
        .address_space:  global
        .offset:         80
        .size:           8
        .value_kind:     global_buffer
      - .offset:         88
        .size:           8
        .value_kind:     by_value
      - .offset:         96
        .size:           16
        .value_kind:     by_value
      - .address_space:  global
        .offset:         112
        .size:           8
        .value_kind:     global_buffer
      - .actual_access:  read_only
        .address_space:  global
        .offset:         120
        .size:           8
        .value_kind:     global_buffer
      - .actual_access:  read_only
        .address_space:  global
        .offset:         128
        .size:           8
        .value_kind:     global_buffer
      - .offset:         136
        .size:           4
        .value_kind:     by_value
      - .offset:         140
        .size:           1
        .value_kind:     by_value
    .group_segment_fixed_size: 8192
    .kernarg_segment_align: 8
    .kernarg_segment_size: 144
    .language:       OpenCL C
    .language_version:
      - 2
      - 0
    .max_flat_workgroup_size: 512
    .name:           _ZN9rocsparseL17sddmm_coox_kernelILi512ELi2ELb0E21rocsparse_complex_numIdEllS2_S2_S2_EEv20rocsparse_operation_S3_16rocsparse_order_S4_T4_S5_S5_T3_NS_24const_host_device_scalarIT2_EEPKT5_lPKT6_lS9_PT7_PKS6_SJ_21rocsparse_index_base_b
    .private_segment_fixed_size: 0
    .sgpr_count:     20
    .sgpr_spill_count: 0
    .symbol:         _ZN9rocsparseL17sddmm_coox_kernelILi512ELi2ELb0E21rocsparse_complex_numIdEllS2_S2_S2_EEv20rocsparse_operation_S3_16rocsparse_order_S4_T4_S5_S5_T3_NS_24const_host_device_scalarIT2_EEPKT5_lPKT6_lS9_PT7_PKS6_SJ_21rocsparse_index_base_b.kd
    .uniform_work_group_size: 1
    .uses_dynamic_stack: false
    .vgpr_count:     34
    .vgpr_spill_count: 0
    .wavefront_size: 32
    .workgroup_processor_mode: 1
  - .args:
      - .offset:         0
        .size:           4
        .value_kind:     by_value
      - .offset:         4
        .size:           4
        .value_kind:     by_value
      - .offset:         8
        .size:           4
        .value_kind:     by_value
      - .offset:         12
        .size:           4
        .value_kind:     by_value
      - .offset:         16
        .size:           8
        .value_kind:     by_value
      - .offset:         24
        .size:           8
        .value_kind:     by_value
      - .offset:         32
        .size:           8
        .value_kind:     by_value
      - .offset:         40
        .size:           8
        .value_kind:     by_value
      - .offset:         48
        .size:           16
        .value_kind:     by_value
      - .actual_access:  read_only
        .address_space:  global
        .offset:         64
        .size:           8
        .value_kind:     global_buffer
      - .offset:         72
        .size:           8
        .value_kind:     by_value
      - .actual_access:  read_only
        .address_space:  global
        .offset:         80
        .size:           8
        .value_kind:     global_buffer
      - .offset:         88
        .size:           8
        .value_kind:     by_value
      - .offset:         96
        .size:           16
        .value_kind:     by_value
      - .address_space:  global
        .offset:         112
        .size:           8
        .value_kind:     global_buffer
      - .actual_access:  read_only
        .address_space:  global
        .offset:         120
        .size:           8
        .value_kind:     global_buffer
      - .actual_access:  read_only
        .address_space:  global
        .offset:         128
        .size:           8
        .value_kind:     global_buffer
      - .offset:         136
        .size:           4
        .value_kind:     by_value
      - .offset:         140
        .size:           1
        .value_kind:     by_value
    .group_segment_fixed_size: 8192
    .kernarg_segment_align: 8
    .kernarg_segment_size: 144
    .language:       OpenCL C
    .language_version:
      - 2
      - 0
    .max_flat_workgroup_size: 512
    .name:           _ZN9rocsparseL17sddmm_coox_kernelILi512ELi1ELb0E21rocsparse_complex_numIdEllS2_S2_S2_EEv20rocsparse_operation_S3_16rocsparse_order_S4_T4_S5_S5_T3_NS_24const_host_device_scalarIT2_EEPKT5_lPKT6_lS9_PT7_PKS6_SJ_21rocsparse_index_base_b
    .private_segment_fixed_size: 0
    .sgpr_count:     20
    .sgpr_spill_count: 0
    .symbol:         _ZN9rocsparseL17sddmm_coox_kernelILi512ELi1ELb0E21rocsparse_complex_numIdEllS2_S2_S2_EEv20rocsparse_operation_S3_16rocsparse_order_S4_T4_S5_S5_T3_NS_24const_host_device_scalarIT2_EEPKT5_lPKT6_lS9_PT7_PKS6_SJ_21rocsparse_index_base_b.kd
    .uniform_work_group_size: 1
    .uses_dynamic_stack: false
    .vgpr_count:     29
    .vgpr_spill_count: 0
    .wavefront_size: 32
    .workgroup_processor_mode: 1
  - .args:
      - .offset:         0
        .size:           4
        .value_kind:     by_value
      - .offset:         4
        .size:           4
        .value_kind:     by_value
      - .offset:         8
        .size:           4
        .value_kind:     by_value
      - .offset:         12
        .size:           4
        .value_kind:     by_value
      - .offset:         16
        .size:           4
        .value_kind:     by_value
      - .offset:         20
        .size:           4
        .value_kind:     by_value
      - .offset:         24
        .size:           4
        .value_kind:     by_value
      - .offset:         28
        .size:           4
        .value_kind:     by_value
      - .offset:         32
        .size:           8
        .value_kind:     by_value
      - .actual_access:  read_only
        .address_space:  global
        .offset:         40
        .size:           8
        .value_kind:     global_buffer
      - .offset:         48
        .size:           8
        .value_kind:     by_value
      - .actual_access:  read_only
        .address_space:  global
        .offset:         56
        .size:           8
        .value_kind:     global_buffer
      - .offset:         64
        .size:           8
        .value_kind:     by_value
      - .offset:         72
        .size:           8
        .value_kind:     by_value
      - .address_space:  global
        .offset:         80
        .size:           8
        .value_kind:     global_buffer
      - .actual_access:  read_only
        .address_space:  global
        .offset:         88
        .size:           8
        .value_kind:     global_buffer
      - .actual_access:  read_only
        .address_space:  global
        .offset:         96
        .size:           8
        .value_kind:     global_buffer
      - .offset:         104
        .size:           4
        .value_kind:     by_value
      - .offset:         108
        .size:           1
        .value_kind:     by_value
    .group_segment_fixed_size: 2048
    .kernarg_segment_align: 8
    .kernarg_segment_size: 112
    .language:       OpenCL C
    .language_version:
      - 2
      - 0
    .max_flat_workgroup_size: 512
    .name:           _ZN9rocsparseL17sddmm_coox_kernelILi512ELi8ELb0EfiiDF16_DF16_fEEv20rocsparse_operation_S1_16rocsparse_order_S2_T4_S3_S3_T3_NS_24const_host_device_scalarIT2_EEPKT5_lPKT6_lS7_PT7_PKS4_SH_21rocsparse_index_base_b
    .private_segment_fixed_size: 0
    .sgpr_count:     22
    .sgpr_spill_count: 0
    .symbol:         _ZN9rocsparseL17sddmm_coox_kernelILi512ELi8ELb0EfiiDF16_DF16_fEEv20rocsparse_operation_S1_16rocsparse_order_S2_T4_S3_S3_T3_NS_24const_host_device_scalarIT2_EEPKT5_lPKT6_lS7_PT7_PKS4_SH_21rocsparse_index_base_b.kd
    .uniform_work_group_size: 1
    .uses_dynamic_stack: false
    .vgpr_count:     18
    .vgpr_spill_count: 0
    .wavefront_size: 32
    .workgroup_processor_mode: 1
  - .args:
      - .offset:         0
        .size:           4
        .value_kind:     by_value
      - .offset:         4
        .size:           4
        .value_kind:     by_value
      - .offset:         8
        .size:           4
        .value_kind:     by_value
      - .offset:         12
        .size:           4
        .value_kind:     by_value
      - .offset:         16
        .size:           4
        .value_kind:     by_value
      - .offset:         20
        .size:           4
        .value_kind:     by_value
      - .offset:         24
        .size:           4
        .value_kind:     by_value
      - .offset:         28
        .size:           4
        .value_kind:     by_value
      - .offset:         32
        .size:           8
        .value_kind:     by_value
      - .actual_access:  read_only
        .address_space:  global
        .offset:         40
        .size:           8
        .value_kind:     global_buffer
      - .offset:         48
        .size:           8
        .value_kind:     by_value
      - .actual_access:  read_only
        .address_space:  global
        .offset:         56
        .size:           8
        .value_kind:     global_buffer
      - .offset:         64
        .size:           8
        .value_kind:     by_value
      - .offset:         72
        .size:           8
        .value_kind:     by_value
      - .address_space:  global
        .offset:         80
        .size:           8
        .value_kind:     global_buffer
      - .actual_access:  read_only
        .address_space:  global
        .offset:         88
        .size:           8
        .value_kind:     global_buffer
      - .actual_access:  read_only
        .address_space:  global
        .offset:         96
        .size:           8
        .value_kind:     global_buffer
      - .offset:         104
        .size:           4
        .value_kind:     by_value
      - .offset:         108
        .size:           1
        .value_kind:     by_value
    .group_segment_fixed_size: 2048
    .kernarg_segment_align: 8
    .kernarg_segment_size: 112
    .language:       OpenCL C
    .language_version:
      - 2
      - 0
    .max_flat_workgroup_size: 512
    .name:           _ZN9rocsparseL17sddmm_coox_kernelILi512ELi4ELb0EfiiDF16_DF16_fEEv20rocsparse_operation_S1_16rocsparse_order_S2_T4_S3_S3_T3_NS_24const_host_device_scalarIT2_EEPKT5_lPKT6_lS7_PT7_PKS4_SH_21rocsparse_index_base_b
    .private_segment_fixed_size: 0
    .sgpr_count:     20
    .sgpr_spill_count: 0
    .symbol:         _ZN9rocsparseL17sddmm_coox_kernelILi512ELi4ELb0EfiiDF16_DF16_fEEv20rocsparse_operation_S1_16rocsparse_order_S2_T4_S3_S3_T3_NS_24const_host_device_scalarIT2_EEPKT5_lPKT6_lS7_PT7_PKS4_SH_21rocsparse_index_base_b.kd
    .uniform_work_group_size: 1
    .uses_dynamic_stack: false
    .vgpr_count:     18
    .vgpr_spill_count: 0
    .wavefront_size: 32
    .workgroup_processor_mode: 1
  - .args:
      - .offset:         0
        .size:           4
        .value_kind:     by_value
      - .offset:         4
        .size:           4
        .value_kind:     by_value
      - .offset:         8
        .size:           4
        .value_kind:     by_value
      - .offset:         12
        .size:           4
        .value_kind:     by_value
      - .offset:         16
        .size:           4
        .value_kind:     by_value
      - .offset:         20
        .size:           4
        .value_kind:     by_value
      - .offset:         24
        .size:           4
        .value_kind:     by_value
      - .offset:         28
        .size:           4
        .value_kind:     by_value
      - .offset:         32
        .size:           8
        .value_kind:     by_value
      - .actual_access:  read_only
        .address_space:  global
        .offset:         40
        .size:           8
        .value_kind:     global_buffer
      - .offset:         48
        .size:           8
        .value_kind:     by_value
      - .actual_access:  read_only
        .address_space:  global
        .offset:         56
        .size:           8
        .value_kind:     global_buffer
      - .offset:         64
        .size:           8
        .value_kind:     by_value
      - .offset:         72
        .size:           8
        .value_kind:     by_value
      - .address_space:  global
        .offset:         80
        .size:           8
        .value_kind:     global_buffer
      - .actual_access:  read_only
        .address_space:  global
        .offset:         88
        .size:           8
        .value_kind:     global_buffer
      - .actual_access:  read_only
        .address_space:  global
        .offset:         96
        .size:           8
        .value_kind:     global_buffer
      - .offset:         104
        .size:           4
        .value_kind:     by_value
      - .offset:         108
        .size:           1
        .value_kind:     by_value
    .group_segment_fixed_size: 2048
    .kernarg_segment_align: 8
    .kernarg_segment_size: 112
    .language:       OpenCL C
    .language_version:
      - 2
      - 0
    .max_flat_workgroup_size: 512
    .name:           _ZN9rocsparseL17sddmm_coox_kernelILi512ELi2ELb0EfiiDF16_DF16_fEEv20rocsparse_operation_S1_16rocsparse_order_S2_T4_S3_S3_T3_NS_24const_host_device_scalarIT2_EEPKT5_lPKT6_lS7_PT7_PKS4_SH_21rocsparse_index_base_b
    .private_segment_fixed_size: 0
    .sgpr_count:     20
    .sgpr_spill_count: 0
    .symbol:         _ZN9rocsparseL17sddmm_coox_kernelILi512ELi2ELb0EfiiDF16_DF16_fEEv20rocsparse_operation_S1_16rocsparse_order_S2_T4_S3_S3_T3_NS_24const_host_device_scalarIT2_EEPKT5_lPKT6_lS7_PT7_PKS4_SH_21rocsparse_index_base_b.kd
    .uniform_work_group_size: 1
    .uses_dynamic_stack: false
    .vgpr_count:     18
    .vgpr_spill_count: 0
    .wavefront_size: 32
    .workgroup_processor_mode: 1
  - .args:
      - .offset:         0
        .size:           4
        .value_kind:     by_value
      - .offset:         4
        .size:           4
        .value_kind:     by_value
      - .offset:         8
        .size:           4
        .value_kind:     by_value
      - .offset:         12
        .size:           4
        .value_kind:     by_value
      - .offset:         16
        .size:           4
        .value_kind:     by_value
      - .offset:         20
        .size:           4
        .value_kind:     by_value
      - .offset:         24
        .size:           4
        .value_kind:     by_value
      - .offset:         28
        .size:           4
        .value_kind:     by_value
      - .offset:         32
        .size:           8
        .value_kind:     by_value
      - .actual_access:  read_only
        .address_space:  global
        .offset:         40
        .size:           8
        .value_kind:     global_buffer
      - .offset:         48
        .size:           8
        .value_kind:     by_value
      - .actual_access:  read_only
        .address_space:  global
        .offset:         56
        .size:           8
        .value_kind:     global_buffer
      - .offset:         64
        .size:           8
        .value_kind:     by_value
      - .offset:         72
        .size:           8
        .value_kind:     by_value
      - .address_space:  global
        .offset:         80
        .size:           8
        .value_kind:     global_buffer
      - .actual_access:  read_only
        .address_space:  global
        .offset:         88
        .size:           8
        .value_kind:     global_buffer
      - .actual_access:  read_only
        .address_space:  global
        .offset:         96
        .size:           8
        .value_kind:     global_buffer
      - .offset:         104
        .size:           4
        .value_kind:     by_value
      - .offset:         108
        .size:           1
        .value_kind:     by_value
    .group_segment_fixed_size: 2048
    .kernarg_segment_align: 8
    .kernarg_segment_size: 112
    .language:       OpenCL C
    .language_version:
      - 2
      - 0
    .max_flat_workgroup_size: 512
    .name:           _ZN9rocsparseL17sddmm_coox_kernelILi512ELi1ELb0EfiiDF16_DF16_fEEv20rocsparse_operation_S1_16rocsparse_order_S2_T4_S3_S3_T3_NS_24const_host_device_scalarIT2_EEPKT5_lPKT6_lS7_PT7_PKS4_SH_21rocsparse_index_base_b
    .private_segment_fixed_size: 0
    .sgpr_count:     20
    .sgpr_spill_count: 0
    .symbol:         _ZN9rocsparseL17sddmm_coox_kernelILi512ELi1ELb0EfiiDF16_DF16_fEEv20rocsparse_operation_S1_16rocsparse_order_S2_T4_S3_S3_T3_NS_24const_host_device_scalarIT2_EEPKT5_lPKT6_lS7_PT7_PKS4_SH_21rocsparse_index_base_b.kd
    .uniform_work_group_size: 1
    .uses_dynamic_stack: false
    .vgpr_count:     11
    .vgpr_spill_count: 0
    .wavefront_size: 32
    .workgroup_processor_mode: 1
  - .args:
      - .offset:         0
        .size:           4
        .value_kind:     by_value
      - .offset:         4
        .size:           4
        .value_kind:     by_value
      - .offset:         8
        .size:           4
        .value_kind:     by_value
      - .offset:         12
        .size:           4
        .value_kind:     by_value
      - .offset:         16
        .size:           8
        .value_kind:     by_value
      - .offset:         24
        .size:           8
        .value_kind:     by_value
      - .offset:         32
        .size:           8
        .value_kind:     by_value
      - .offset:         40
        .size:           8
        .value_kind:     by_value
      - .offset:         48
        .size:           8
        .value_kind:     by_value
      - .actual_access:  read_only
        .address_space:  global
        .offset:         56
        .size:           8
        .value_kind:     global_buffer
      - .offset:         64
        .size:           8
        .value_kind:     by_value
      - .actual_access:  read_only
        .address_space:  global
        .offset:         72
        .size:           8
        .value_kind:     global_buffer
      - .offset:         80
        .size:           8
        .value_kind:     by_value
      - .offset:         88
        .size:           8
        .value_kind:     by_value
      - .address_space:  global
        .offset:         96
        .size:           8
        .value_kind:     global_buffer
      - .actual_access:  read_only
        .address_space:  global
        .offset:         104
        .size:           8
        .value_kind:     global_buffer
      - .actual_access:  read_only
        .address_space:  global
        .offset:         112
        .size:           8
        .value_kind:     global_buffer
      - .offset:         120
        .size:           4
        .value_kind:     by_value
      - .offset:         124
        .size:           1
        .value_kind:     by_value
    .group_segment_fixed_size: 2048
    .kernarg_segment_align: 8
    .kernarg_segment_size: 128
    .language:       OpenCL C
    .language_version:
      - 2
      - 0
    .max_flat_workgroup_size: 512
    .name:           _ZN9rocsparseL17sddmm_coox_kernelILi512ELi8ELb0EfllDF16_DF16_fEEv20rocsparse_operation_S1_16rocsparse_order_S2_T4_S3_S3_T3_NS_24const_host_device_scalarIT2_EEPKT5_lPKT6_lS7_PT7_PKS4_SH_21rocsparse_index_base_b
    .private_segment_fixed_size: 0
    .sgpr_count:     22
    .sgpr_spill_count: 0
    .symbol:         _ZN9rocsparseL17sddmm_coox_kernelILi512ELi8ELb0EfllDF16_DF16_fEEv20rocsparse_operation_S1_16rocsparse_order_S2_T4_S3_S3_T3_NS_24const_host_device_scalarIT2_EEPKT5_lPKT6_lS7_PT7_PKS4_SH_21rocsparse_index_base_b.kd
    .uniform_work_group_size: 1
    .uses_dynamic_stack: false
    .vgpr_count:     17
    .vgpr_spill_count: 0
    .wavefront_size: 32
    .workgroup_processor_mode: 1
  - .args:
      - .offset:         0
        .size:           4
        .value_kind:     by_value
      - .offset:         4
        .size:           4
        .value_kind:     by_value
      - .offset:         8
        .size:           4
        .value_kind:     by_value
      - .offset:         12
        .size:           4
        .value_kind:     by_value
      - .offset:         16
        .size:           8
        .value_kind:     by_value
      - .offset:         24
        .size:           8
        .value_kind:     by_value
      - .offset:         32
        .size:           8
        .value_kind:     by_value
      - .offset:         40
        .size:           8
        .value_kind:     by_value
      - .offset:         48
        .size:           8
        .value_kind:     by_value
      - .actual_access:  read_only
        .address_space:  global
        .offset:         56
        .size:           8
        .value_kind:     global_buffer
      - .offset:         64
        .size:           8
        .value_kind:     by_value
      - .actual_access:  read_only
        .address_space:  global
        .offset:         72
        .size:           8
        .value_kind:     global_buffer
      - .offset:         80
        .size:           8
        .value_kind:     by_value
      - .offset:         88
        .size:           8
        .value_kind:     by_value
      - .address_space:  global
        .offset:         96
        .size:           8
        .value_kind:     global_buffer
      - .actual_access:  read_only
        .address_space:  global
        .offset:         104
        .size:           8
        .value_kind:     global_buffer
      - .actual_access:  read_only
        .address_space:  global
        .offset:         112
        .size:           8
        .value_kind:     global_buffer
      - .offset:         120
        .size:           4
        .value_kind:     by_value
      - .offset:         124
        .size:           1
        .value_kind:     by_value
    .group_segment_fixed_size: 2048
    .kernarg_segment_align: 8
    .kernarg_segment_size: 128
    .language:       OpenCL C
    .language_version:
      - 2
      - 0
    .max_flat_workgroup_size: 512
    .name:           _ZN9rocsparseL17sddmm_coox_kernelILi512ELi4ELb0EfllDF16_DF16_fEEv20rocsparse_operation_S1_16rocsparse_order_S2_T4_S3_S3_T3_NS_24const_host_device_scalarIT2_EEPKT5_lPKT6_lS7_PT7_PKS4_SH_21rocsparse_index_base_b
    .private_segment_fixed_size: 0
    .sgpr_count:     22
    .sgpr_spill_count: 0
    .symbol:         _ZN9rocsparseL17sddmm_coox_kernelILi512ELi4ELb0EfllDF16_DF16_fEEv20rocsparse_operation_S1_16rocsparse_order_S2_T4_S3_S3_T3_NS_24const_host_device_scalarIT2_EEPKT5_lPKT6_lS7_PT7_PKS4_SH_21rocsparse_index_base_b.kd
    .uniform_work_group_size: 1
    .uses_dynamic_stack: false
    .vgpr_count:     17
    .vgpr_spill_count: 0
    .wavefront_size: 32
    .workgroup_processor_mode: 1
  - .args:
      - .offset:         0
        .size:           4
        .value_kind:     by_value
      - .offset:         4
        .size:           4
        .value_kind:     by_value
      - .offset:         8
        .size:           4
        .value_kind:     by_value
      - .offset:         12
        .size:           4
        .value_kind:     by_value
      - .offset:         16
        .size:           8
        .value_kind:     by_value
      - .offset:         24
        .size:           8
        .value_kind:     by_value
      - .offset:         32
        .size:           8
        .value_kind:     by_value
      - .offset:         40
        .size:           8
        .value_kind:     by_value
      - .offset:         48
        .size:           8
        .value_kind:     by_value
      - .actual_access:  read_only
        .address_space:  global
        .offset:         56
        .size:           8
        .value_kind:     global_buffer
      - .offset:         64
        .size:           8
        .value_kind:     by_value
      - .actual_access:  read_only
        .address_space:  global
        .offset:         72
        .size:           8
        .value_kind:     global_buffer
      - .offset:         80
        .size:           8
        .value_kind:     by_value
      - .offset:         88
        .size:           8
        .value_kind:     by_value
      - .address_space:  global
        .offset:         96
        .size:           8
        .value_kind:     global_buffer
      - .actual_access:  read_only
        .address_space:  global
        .offset:         104
        .size:           8
        .value_kind:     global_buffer
      - .actual_access:  read_only
        .address_space:  global
        .offset:         112
        .size:           8
        .value_kind:     global_buffer
      - .offset:         120
        .size:           4
        .value_kind:     by_value
      - .offset:         124
        .size:           1
        .value_kind:     by_value
    .group_segment_fixed_size: 2048
    .kernarg_segment_align: 8
    .kernarg_segment_size: 128
    .language:       OpenCL C
    .language_version:
      - 2
      - 0
    .max_flat_workgroup_size: 512
    .name:           _ZN9rocsparseL17sddmm_coox_kernelILi512ELi2ELb0EfllDF16_DF16_fEEv20rocsparse_operation_S1_16rocsparse_order_S2_T4_S3_S3_T3_NS_24const_host_device_scalarIT2_EEPKT5_lPKT6_lS7_PT7_PKS4_SH_21rocsparse_index_base_b
    .private_segment_fixed_size: 0
    .sgpr_count:     22
    .sgpr_spill_count: 0
    .symbol:         _ZN9rocsparseL17sddmm_coox_kernelILi512ELi2ELb0EfllDF16_DF16_fEEv20rocsparse_operation_S1_16rocsparse_order_S2_T4_S3_S3_T3_NS_24const_host_device_scalarIT2_EEPKT5_lPKT6_lS7_PT7_PKS4_SH_21rocsparse_index_base_b.kd
    .uniform_work_group_size: 1
    .uses_dynamic_stack: false
    .vgpr_count:     16
    .vgpr_spill_count: 0
    .wavefront_size: 32
    .workgroup_processor_mode: 1
  - .args:
      - .offset:         0
        .size:           4
        .value_kind:     by_value
      - .offset:         4
        .size:           4
        .value_kind:     by_value
      - .offset:         8
        .size:           4
        .value_kind:     by_value
      - .offset:         12
        .size:           4
        .value_kind:     by_value
      - .offset:         16
        .size:           8
        .value_kind:     by_value
      - .offset:         24
        .size:           8
        .value_kind:     by_value
      - .offset:         32
        .size:           8
        .value_kind:     by_value
      - .offset:         40
        .size:           8
        .value_kind:     by_value
      - .offset:         48
        .size:           8
        .value_kind:     by_value
      - .actual_access:  read_only
        .address_space:  global
        .offset:         56
        .size:           8
        .value_kind:     global_buffer
      - .offset:         64
        .size:           8
        .value_kind:     by_value
      - .actual_access:  read_only
        .address_space:  global
        .offset:         72
        .size:           8
        .value_kind:     global_buffer
      - .offset:         80
        .size:           8
        .value_kind:     by_value
      - .offset:         88
        .size:           8
        .value_kind:     by_value
      - .address_space:  global
        .offset:         96
        .size:           8
        .value_kind:     global_buffer
      - .actual_access:  read_only
        .address_space:  global
        .offset:         104
        .size:           8
        .value_kind:     global_buffer
      - .actual_access:  read_only
        .address_space:  global
        .offset:         112
        .size:           8
        .value_kind:     global_buffer
      - .offset:         120
        .size:           4
        .value_kind:     by_value
      - .offset:         124
        .size:           1
        .value_kind:     by_value
    .group_segment_fixed_size: 2048
    .kernarg_segment_align: 8
    .kernarg_segment_size: 128
    .language:       OpenCL C
    .language_version:
      - 2
      - 0
    .max_flat_workgroup_size: 512
    .name:           _ZN9rocsparseL17sddmm_coox_kernelILi512ELi1ELb0EfllDF16_DF16_fEEv20rocsparse_operation_S1_16rocsparse_order_S2_T4_S3_S3_T3_NS_24const_host_device_scalarIT2_EEPKT5_lPKT6_lS7_PT7_PKS4_SH_21rocsparse_index_base_b
    .private_segment_fixed_size: 0
    .sgpr_count:     22
    .sgpr_spill_count: 0
    .symbol:         _ZN9rocsparseL17sddmm_coox_kernelILi512ELi1ELb0EfllDF16_DF16_fEEv20rocsparse_operation_S1_16rocsparse_order_S2_T4_S3_S3_T3_NS_24const_host_device_scalarIT2_EEPKT5_lPKT6_lS7_PT7_PKS4_SH_21rocsparse_index_base_b.kd
    .uniform_work_group_size: 1
    .uses_dynamic_stack: false
    .vgpr_count:     11
    .vgpr_spill_count: 0
    .wavefront_size: 32
    .workgroup_processor_mode: 1
amdhsa.target:   amdgcn-amd-amdhsa--gfx1030
amdhsa.version:
  - 1
  - 2
...

	.end_amdgpu_metadata
